;; amdgpu-corpus repo=ROCm/rocFFT kind=compiled arch=gfx906 opt=O3
	.text
	.amdgcn_target "amdgcn-amd-amdhsa--gfx906"
	.amdhsa_code_object_version 6
	.protected	fft_rtc_back_len3750_factors_3_5_5_10_5_wgs_125_tpt_125_halfLds_sp_ip_CI_unitstride_sbrr_R2C_dirReg ; -- Begin function fft_rtc_back_len3750_factors_3_5_5_10_5_wgs_125_tpt_125_halfLds_sp_ip_CI_unitstride_sbrr_R2C_dirReg
	.globl	fft_rtc_back_len3750_factors_3_5_5_10_5_wgs_125_tpt_125_halfLds_sp_ip_CI_unitstride_sbrr_R2C_dirReg
	.p2align	8
	.type	fft_rtc_back_len3750_factors_3_5_5_10_5_wgs_125_tpt_125_halfLds_sp_ip_CI_unitstride_sbrr_R2C_dirReg,@function
fft_rtc_back_len3750_factors_3_5_5_10_5_wgs_125_tpt_125_halfLds_sp_ip_CI_unitstride_sbrr_R2C_dirReg: ; @fft_rtc_back_len3750_factors_3_5_5_10_5_wgs_125_tpt_125_halfLds_sp_ip_CI_unitstride_sbrr_R2C_dirReg
; %bb.0:
	s_load_dwordx2 s[2:3], s[4:5], 0x50
	s_load_dwordx4 s[8:11], s[4:5], 0x0
	s_load_dwordx2 s[12:13], s[4:5], 0x18
	v_mul_u32_u24_e32 v1, 0x20d, v0
	v_add_u32_sdwa v5, s6, v1 dst_sel:DWORD dst_unused:UNUSED_PAD src0_sel:DWORD src1_sel:WORD_1
	v_mov_b32_e32 v3, 0
	s_waitcnt lgkmcnt(0)
	v_cmp_lt_u64_e64 s[0:1], s[10:11], 2
	v_mov_b32_e32 v1, 0
	v_mov_b32_e32 v6, v3
	s_and_b64 vcc, exec, s[0:1]
	v_mov_b32_e32 v2, 0
	s_cbranch_vccnz .LBB0_8
; %bb.1:
	s_load_dwordx2 s[0:1], s[4:5], 0x10
	s_add_u32 s6, s12, 8
	s_addc_u32 s7, s13, 0
	v_mov_b32_e32 v1, 0
	v_mov_b32_e32 v2, 0
	s_waitcnt lgkmcnt(0)
	s_add_u32 s14, s0, 8
	s_addc_u32 s15, s1, 0
	s_mov_b64 s[16:17], 1
.LBB0_2:                                ; =>This Inner Loop Header: Depth=1
	s_load_dwordx2 s[18:19], s[14:15], 0x0
                                        ; implicit-def: $vgpr7_vgpr8
	s_waitcnt lgkmcnt(0)
	v_or_b32_e32 v4, s19, v6
	v_cmp_ne_u64_e32 vcc, 0, v[3:4]
	s_and_saveexec_b64 s[0:1], vcc
	s_xor_b64 s[20:21], exec, s[0:1]
	s_cbranch_execz .LBB0_4
; %bb.3:                                ;   in Loop: Header=BB0_2 Depth=1
	v_cvt_f32_u32_e32 v4, s18
	v_cvt_f32_u32_e32 v7, s19
	s_sub_u32 s0, 0, s18
	s_subb_u32 s1, 0, s19
	v_mac_f32_e32 v4, 0x4f800000, v7
	v_rcp_f32_e32 v4, v4
	v_mul_f32_e32 v4, 0x5f7ffffc, v4
	v_mul_f32_e32 v7, 0x2f800000, v4
	v_trunc_f32_e32 v7, v7
	v_mac_f32_e32 v4, 0xcf800000, v7
	v_cvt_u32_f32_e32 v7, v7
	v_cvt_u32_f32_e32 v4, v4
	v_mul_lo_u32 v8, s0, v7
	v_mul_hi_u32 v9, s0, v4
	v_mul_lo_u32 v11, s1, v4
	v_mul_lo_u32 v10, s0, v4
	v_add_u32_e32 v8, v9, v8
	v_add_u32_e32 v8, v8, v11
	v_mul_hi_u32 v9, v4, v10
	v_mul_lo_u32 v11, v4, v8
	v_mul_hi_u32 v13, v4, v8
	v_mul_hi_u32 v12, v7, v10
	v_mul_lo_u32 v10, v7, v10
	v_mul_hi_u32 v14, v7, v8
	v_add_co_u32_e32 v9, vcc, v9, v11
	v_addc_co_u32_e32 v11, vcc, 0, v13, vcc
	v_mul_lo_u32 v8, v7, v8
	v_add_co_u32_e32 v9, vcc, v9, v10
	v_addc_co_u32_e32 v9, vcc, v11, v12, vcc
	v_addc_co_u32_e32 v10, vcc, 0, v14, vcc
	v_add_co_u32_e32 v8, vcc, v9, v8
	v_addc_co_u32_e32 v9, vcc, 0, v10, vcc
	v_add_co_u32_e32 v4, vcc, v4, v8
	v_addc_co_u32_e32 v7, vcc, v7, v9, vcc
	v_mul_lo_u32 v8, s0, v7
	v_mul_hi_u32 v9, s0, v4
	v_mul_lo_u32 v10, s1, v4
	v_mul_lo_u32 v11, s0, v4
	v_add_u32_e32 v8, v9, v8
	v_add_u32_e32 v8, v8, v10
	v_mul_lo_u32 v12, v4, v8
	v_mul_hi_u32 v13, v4, v11
	v_mul_hi_u32 v14, v4, v8
	;; [unrolled: 1-line block ×3, first 2 shown]
	v_mul_lo_u32 v11, v7, v11
	v_mul_hi_u32 v9, v7, v8
	v_add_co_u32_e32 v12, vcc, v13, v12
	v_addc_co_u32_e32 v13, vcc, 0, v14, vcc
	v_mul_lo_u32 v8, v7, v8
	v_add_co_u32_e32 v11, vcc, v12, v11
	v_addc_co_u32_e32 v10, vcc, v13, v10, vcc
	v_addc_co_u32_e32 v9, vcc, 0, v9, vcc
	v_add_co_u32_e32 v8, vcc, v10, v8
	v_addc_co_u32_e32 v9, vcc, 0, v9, vcc
	v_add_co_u32_e32 v4, vcc, v4, v8
	v_addc_co_u32_e32 v9, vcc, v7, v9, vcc
	v_mad_u64_u32 v[7:8], s[0:1], v5, v9, 0
	v_mul_hi_u32 v10, v5, v4
	v_add_co_u32_e32 v11, vcc, v10, v7
	v_addc_co_u32_e32 v12, vcc, 0, v8, vcc
	v_mad_u64_u32 v[7:8], s[0:1], v6, v4, 0
	v_mad_u64_u32 v[9:10], s[0:1], v6, v9, 0
	v_add_co_u32_e32 v4, vcc, v11, v7
	v_addc_co_u32_e32 v4, vcc, v12, v8, vcc
	v_addc_co_u32_e32 v7, vcc, 0, v10, vcc
	v_add_co_u32_e32 v4, vcc, v4, v9
	v_addc_co_u32_e32 v9, vcc, 0, v7, vcc
	v_mul_lo_u32 v10, s19, v4
	v_mul_lo_u32 v11, s18, v9
	v_mad_u64_u32 v[7:8], s[0:1], s18, v4, 0
	v_add3_u32 v8, v8, v11, v10
	v_sub_u32_e32 v10, v6, v8
	v_mov_b32_e32 v11, s19
	v_sub_co_u32_e32 v7, vcc, v5, v7
	v_subb_co_u32_e64 v10, s[0:1], v10, v11, vcc
	v_subrev_co_u32_e64 v11, s[0:1], s18, v7
	v_subbrev_co_u32_e64 v10, s[0:1], 0, v10, s[0:1]
	v_cmp_le_u32_e64 s[0:1], s19, v10
	v_cndmask_b32_e64 v12, 0, -1, s[0:1]
	v_cmp_le_u32_e64 s[0:1], s18, v11
	v_cndmask_b32_e64 v11, 0, -1, s[0:1]
	v_cmp_eq_u32_e64 s[0:1], s19, v10
	v_cndmask_b32_e64 v10, v12, v11, s[0:1]
	v_add_co_u32_e64 v11, s[0:1], 2, v4
	v_addc_co_u32_e64 v12, s[0:1], 0, v9, s[0:1]
	v_add_co_u32_e64 v13, s[0:1], 1, v4
	v_addc_co_u32_e64 v14, s[0:1], 0, v9, s[0:1]
	v_subb_co_u32_e32 v8, vcc, v6, v8, vcc
	v_cmp_ne_u32_e64 s[0:1], 0, v10
	v_cmp_le_u32_e32 vcc, s19, v8
	v_cndmask_b32_e64 v10, v14, v12, s[0:1]
	v_cndmask_b32_e64 v12, 0, -1, vcc
	v_cmp_le_u32_e32 vcc, s18, v7
	v_cndmask_b32_e64 v7, 0, -1, vcc
	v_cmp_eq_u32_e32 vcc, s19, v8
	v_cndmask_b32_e32 v7, v12, v7, vcc
	v_cmp_ne_u32_e32 vcc, 0, v7
	v_cndmask_b32_e64 v7, v13, v11, s[0:1]
	v_cndmask_b32_e32 v8, v9, v10, vcc
	v_cndmask_b32_e32 v7, v4, v7, vcc
.LBB0_4:                                ;   in Loop: Header=BB0_2 Depth=1
	s_andn2_saveexec_b64 s[0:1], s[20:21]
	s_cbranch_execz .LBB0_6
; %bb.5:                                ;   in Loop: Header=BB0_2 Depth=1
	v_cvt_f32_u32_e32 v4, s18
	s_sub_i32 s20, 0, s18
	v_rcp_iflag_f32_e32 v4, v4
	v_mul_f32_e32 v4, 0x4f7ffffe, v4
	v_cvt_u32_f32_e32 v4, v4
	v_mul_lo_u32 v7, s20, v4
	v_mul_hi_u32 v7, v4, v7
	v_add_u32_e32 v4, v4, v7
	v_mul_hi_u32 v4, v5, v4
	v_mul_lo_u32 v7, v4, s18
	v_add_u32_e32 v8, 1, v4
	v_sub_u32_e32 v7, v5, v7
	v_subrev_u32_e32 v9, s18, v7
	v_cmp_le_u32_e32 vcc, s18, v7
	v_cndmask_b32_e32 v7, v7, v9, vcc
	v_cndmask_b32_e32 v4, v4, v8, vcc
	v_add_u32_e32 v8, 1, v4
	v_cmp_le_u32_e32 vcc, s18, v7
	v_cndmask_b32_e32 v7, v4, v8, vcc
	v_mov_b32_e32 v8, v3
.LBB0_6:                                ;   in Loop: Header=BB0_2 Depth=1
	s_or_b64 exec, exec, s[0:1]
	v_mul_lo_u32 v4, v8, s18
	v_mul_lo_u32 v11, v7, s19
	v_mad_u64_u32 v[9:10], s[0:1], v7, s18, 0
	s_load_dwordx2 s[0:1], s[6:7], 0x0
	s_add_u32 s16, s16, 1
	v_add3_u32 v4, v10, v11, v4
	v_sub_co_u32_e32 v5, vcc, v5, v9
	v_subb_co_u32_e32 v4, vcc, v6, v4, vcc
	s_waitcnt lgkmcnt(0)
	v_mul_lo_u32 v4, s0, v4
	v_mul_lo_u32 v6, s1, v5
	v_mad_u64_u32 v[1:2], s[0:1], s0, v5, v[1:2]
	s_addc_u32 s17, s17, 0
	s_add_u32 s6, s6, 8
	v_add3_u32 v2, v6, v2, v4
	v_mov_b32_e32 v4, s10
	v_mov_b32_e32 v5, s11
	s_addc_u32 s7, s7, 0
	v_cmp_ge_u64_e32 vcc, s[16:17], v[4:5]
	s_add_u32 s14, s14, 8
	s_addc_u32 s15, s15, 0
	s_cbranch_vccnz .LBB0_9
; %bb.7:                                ;   in Loop: Header=BB0_2 Depth=1
	v_mov_b32_e32 v5, v7
	v_mov_b32_e32 v6, v8
	s_branch .LBB0_2
.LBB0_8:
	v_mov_b32_e32 v8, v6
	v_mov_b32_e32 v7, v5
.LBB0_9:
	s_lshl_b64 s[0:1], s[10:11], 3
	s_add_u32 s0, s12, s0
	s_addc_u32 s1, s13, s1
	s_load_dwordx2 s[6:7], s[0:1], 0x0
	s_load_dwordx2 s[10:11], s[4:5], 0x20
                                        ; implicit-def: $vgpr24
                                        ; implicit-def: $vgpr33
                                        ; implicit-def: $vgpr32
                                        ; implicit-def: $vgpr27
                                        ; implicit-def: $vgpr29
                                        ; implicit-def: $vgpr31
                                        ; implicit-def: $vgpr26
	s_waitcnt lgkmcnt(0)
	v_mad_u64_u32 v[1:2], s[0:1], s6, v7, v[1:2]
	s_mov_b32 s0, 0x20c49bb
	v_mul_lo_u32 v3, s6, v8
	v_mul_lo_u32 v4, s7, v7
	v_mul_hi_u32 v5, v0, s0
	v_cmp_gt_u64_e64 s[0:1], s[10:11], v[7:8]
	v_cmp_le_u64_e32 vcc, s[10:11], v[7:8]
	v_add3_u32 v2, v4, v2, v3
	v_mul_u32_u24_e32 v3, 0x7d, v5
	v_sub_u32_e32 v20, v0, v3
	s_and_saveexec_b64 s[4:5], vcc
	s_xor_b64 s[4:5], exec, s[4:5]
; %bb.10:
	v_add_u32_e32 v24, 0x7d, v20
	v_add_u32_e32 v33, 0xfa, v20
	;; [unrolled: 1-line block ×7, first 2 shown]
; %bb.11:
	s_or_saveexec_b64 s[4:5], s[4:5]
	v_lshlrev_b64 v[22:23], 3, v[1:2]
	s_xor_b64 exec, exec, s[4:5]
	s_cbranch_execz .LBB0_13
; %bb.12:
	v_mov_b32_e32 v21, 0
	v_mov_b32_e32 v0, s3
	v_add_co_u32_e32 v2, vcc, s2, v22
	v_addc_co_u32_e32 v3, vcc, v0, v23, vcc
	v_lshlrev_b64 v[0:1], 3, v[20:21]
	s_movk_i32 s6, 0x1000
	v_add_co_u32_e32 v0, vcc, v2, v0
	v_addc_co_u32_e32 v1, vcc, v3, v1, vcc
	v_add_co_u32_e32 v4, vcc, s6, v0
	v_addc_co_u32_e32 v5, vcc, 0, v1, vcc
	s_movk_i32 s6, 0x2000
	v_add_co_u32_e32 v14, vcc, s6, v0
	s_movk_i32 s7, 0x3000
	v_addc_co_u32_e32 v15, vcc, 0, v1, vcc
	global_load_dwordx2 v[2:3], v[0:1], off offset:3000
	global_load_dwordx2 v[6:7], v[0:1], off offset:4000
	;; [unrolled: 1-line block ×9, first 2 shown]
	v_add_co_u32_e32 v4, vcc, s7, v0
	v_addc_co_u32_e32 v5, vcc, 0, v1, vcc
	s_movk_i32 s6, 0x4000
	global_load_dwordx2 v[28:29], v[14:15], off offset:3808
	global_load_dwordx2 v[30:31], v[4:5], off offset:712
	;; [unrolled: 1-line block ×4, first 2 shown]
	v_add_co_u32_e32 v14, vcc, s6, v0
	v_addc_co_u32_e32 v15, vcc, 0, v1, vcc
	s_movk_i32 s6, 0x5000
	global_load_dwordx2 v[36:37], v[0:1], off
	global_load_dwordx2 v[38:39], v[0:1], off offset:2000
	global_load_dwordx2 v[40:41], v[0:1], off offset:1000
	;; [unrolled: 1-line block ×6, first 2 shown]
	v_add_co_u32_e32 v4, vcc, s6, v0
	s_movk_i32 s7, 0x6000
	v_addc_co_u32_e32 v5, vcc, 0, v1, vcc
	v_add_co_u32_e32 v50, vcc, s7, v0
	global_load_dwordx2 v[52:53], v[14:15], off offset:3616
	global_load_dwordx2 v[54:55], v[4:5], off offset:520
	;; [unrolled: 1-line block ×4, first 2 shown]
	v_addc_co_u32_e32 v51, vcc, 0, v1, vcc
	v_add_co_u32_e32 v0, vcc, 0x7000, v0
	global_load_dwordx2 v[14:15], v[4:5], off offset:3520
	global_load_dwordx2 v[60:61], v[50:51], off offset:424
	;; [unrolled: 1-line block ×4, first 2 shown]
	v_addc_co_u32_e32 v1, vcc, 0, v1, vcc
	global_load_dwordx2 v[4:5], v[50:51], off offset:3424
	global_load_dwordx2 v[66:67], v[0:1], off offset:328
	v_lshl_add_u32 v0, v20, 3, 0
	v_add_u32_e32 v1, 0x400, v0
	v_add_u32_e32 v21, 0xc00, v0
	;; [unrolled: 1-line block ×4, first 2 shown]
	s_waitcnt vmcnt(15)
	ds_write2_b64 v1, v[38:39], v[2:3] offset0:122 offset1:247
	ds_write2_b64 v21, v[6:7], v[8:9] offset0:116 offset1:241
	;; [unrolled: 1-line block ×4, first 2 shown]
	v_add_u32_e32 v1, 0x2400, v0
	ds_write2_b64 v1, v[24:25], v[26:27] offset0:98 offset1:223
	v_add_u32_e32 v1, 0x2c00, v0
	ds_write2_b64 v1, v[28:29], v[30:31] offset0:92 offset1:217
	v_add_u32_e32 v1, 0x3400, v0
	v_add_u32_e32 v2, 0x3c00, v0
	;; [unrolled: 1-line block ×3, first 2 shown]
	ds_write2_b64 v1, v[32:33], v[34:35] offset0:86 offset1:211
	s_waitcnt vmcnt(12)
	ds_write2_b64 v2, v[42:43], v[44:45] offset0:80 offset1:205
	ds_write2_b64 v0, v[36:37], v[40:41] offset1:125
	s_waitcnt vmcnt(10)
	ds_write2_b64 v3, v[46:47], v[48:49] offset0:74 offset1:199
	v_add_u32_e32 v1, 0x4c00, v0
	v_add_u32_e32 v24, 0x7d, v20
	s_waitcnt vmcnt(8)
	ds_write2_b64 v1, v[52:53], v[54:55] offset0:68 offset1:193
	v_add_u32_e32 v1, 0x5400, v0
	s_waitcnt vmcnt(6)
	ds_write2_b64 v1, v[56:57], v[58:59] offset0:62 offset1:187
	v_add_u32_e32 v1, 0x5c00, v0
	v_add_u32_e32 v33, 0xfa, v20
	;; [unrolled: 1-line block ×5, first 2 shown]
	s_waitcnt vmcnt(4)
	ds_write2_b64 v1, v[14:15], v[60:61] offset0:56 offset1:181
	v_add_u32_e32 v31, 0x2ee, v20
	v_add_u32_e32 v26, 0x465, v20
	v_add_u32_e32 v1, 0x6400, v0
	v_add_u32_e32 v0, 0x6c00, v0
	s_waitcnt vmcnt(2)
	ds_write2_b64 v1, v[62:63], v[64:65] offset0:50 offset1:175
	s_waitcnt vmcnt(0)
	ds_write2_b64 v0, v[4:5], v[66:67] offset0:44 offset1:169
.LBB0_13:
	s_or_b64 exec, exec, s[4:5]
	v_lshlrev_b32_e32 v21, 3, v20
	v_add_u32_e32 v76, 0, v21
	v_add_u32_e32 v101, 0x2400, v76
	s_waitcnt lgkmcnt(0)
	s_barrier
	ds_read2_b64 v[16:19], v76 offset1:125
	ds_read2_b64 v[34:37], v101 offset0:98 offset1:223
	v_add_u32_e32 v95, 0x4c00, v76
	ds_read2_b64 v[38:41], v95 offset0:68 offset1:193
	v_add_u32_e32 v0, 0x400, v76
	v_add_u32_e32 v102, 0x2c00, v76
	s_waitcnt lgkmcnt(1)
	v_add_f32_e32 v25, v16, v34
	ds_read2_b64 v[12:15], v0 offset0:122 offset1:247
	s_waitcnt lgkmcnt(1)
	v_add_f32_e32 v77, v25, v38
	v_add_f32_e32 v25, v34, v38
	v_fma_f32 v16, -0.5, v25, v16
	v_sub_f32_e32 v25, v35, v39
	v_mov_b32_e32 v79, v16
	v_fmac_f32_e32 v79, 0xbf5db3d7, v25
	v_fmac_f32_e32 v16, 0x3f5db3d7, v25
	v_add_f32_e32 v25, v17, v35
	v_add_f32_e32 v78, v25, v39
	;; [unrolled: 1-line block ×3, first 2 shown]
	v_fma_f32 v17, -0.5, v25, v17
	v_sub_f32_e32 v25, v34, v38
	v_mov_b32_e32 v80, v17
	v_fmac_f32_e32 v80, 0x3f5db3d7, v25
	v_fmac_f32_e32 v17, 0xbf5db3d7, v25
	v_add_f32_e32 v25, v18, v36
	v_add_f32_e32 v34, v25, v40
	;; [unrolled: 1-line block ×3, first 2 shown]
	v_fma_f32 v18, -0.5, v25, v18
	ds_read2_b64 v[42:45], v102 offset0:92 offset1:217
	v_add_u32_e32 v74, 0x5400, v76
	v_sub_f32_e32 v25, v37, v41
	v_mov_b32_e32 v38, v18
	ds_read2_b64 v[46:49], v74 offset0:62 offset1:187
	v_fmac_f32_e32 v38, 0xbf5db3d7, v25
	v_fmac_f32_e32 v18, 0x3f5db3d7, v25
	v_add_f32_e32 v25, v19, v37
	v_add_f32_e32 v35, v25, v41
	v_add_f32_e32 v25, v37, v41
	v_fmac_f32_e32 v19, -0.5, v25
	v_sub_f32_e32 v25, v36, v40
	v_mov_b32_e32 v39, v19
	v_fmac_f32_e32 v39, 0x3f5db3d7, v25
	v_fmac_f32_e32 v19, 0xbf5db3d7, v25
	s_waitcnt lgkmcnt(1)
	v_add_f32_e32 v25, v12, v42
	s_waitcnt lgkmcnt(0)
	v_add_f32_e32 v36, v25, v46
	v_add_f32_e32 v25, v42, v46
	v_fma_f32 v12, -0.5, v25, v12
	v_sub_f32_e32 v25, v43, v47
	v_mov_b32_e32 v40, v12
	v_fmac_f32_e32 v40, 0xbf5db3d7, v25
	v_fmac_f32_e32 v12, 0x3f5db3d7, v25
	v_add_f32_e32 v25, v13, v43
	v_add_f32_e32 v37, v25, v47
	v_add_f32_e32 v25, v43, v47
	v_fma_f32 v13, -0.5, v25, v13
	v_sub_f32_e32 v25, v42, v46
	v_mov_b32_e32 v41, v13
	v_fmac_f32_e32 v41, 0x3f5db3d7, v25
	v_fmac_f32_e32 v13, 0xbf5db3d7, v25
	v_add_f32_e32 v25, v14, v44
	v_add_f32_e32 v42, v25, v48
	v_add_f32_e32 v25, v44, v48
	v_add_u32_e32 v103, 0xc00, v76
	v_add_u32_e32 v99, 0x3400, v76
	v_fma_f32 v14, -0.5, v25, v14
	ds_read2_b64 v[8:11], v103 offset0:116 offset1:241
	ds_read2_b64 v[50:53], v99 offset0:86 offset1:211
	v_add_u32_e32 v97, 0x5c00, v76
	v_sub_f32_e32 v25, v45, v49
	v_mov_b32_e32 v46, v14
	ds_read2_b64 v[54:57], v97 offset0:56 offset1:181
	v_fmac_f32_e32 v46, 0xbf5db3d7, v25
	v_fmac_f32_e32 v14, 0x3f5db3d7, v25
	v_add_f32_e32 v25, v15, v45
	v_add_f32_e32 v43, v25, v49
	v_add_f32_e32 v25, v45, v49
	v_fmac_f32_e32 v15, -0.5, v25
	v_sub_f32_e32 v25, v44, v48
	v_mov_b32_e32 v47, v15
	v_fmac_f32_e32 v47, 0x3f5db3d7, v25
	v_fmac_f32_e32 v15, 0xbf5db3d7, v25
	s_waitcnt lgkmcnt(1)
	v_add_f32_e32 v25, v8, v50
	s_waitcnt lgkmcnt(0)
	v_add_f32_e32 v44, v25, v54
	v_add_f32_e32 v25, v50, v54
	v_fma_f32 v8, -0.5, v25, v8
	v_sub_f32_e32 v25, v51, v55
	v_mov_b32_e32 v48, v8
	v_fmac_f32_e32 v48, 0xbf5db3d7, v25
	v_fmac_f32_e32 v8, 0x3f5db3d7, v25
	v_add_f32_e32 v25, v9, v51
	v_add_f32_e32 v45, v25, v55
	v_add_f32_e32 v25, v51, v55
	v_fma_f32 v9, -0.5, v25, v9
	v_sub_f32_e32 v25, v50, v54
	v_mov_b32_e32 v49, v9
	v_fmac_f32_e32 v49, 0x3f5db3d7, v25
	v_fmac_f32_e32 v9, 0xbf5db3d7, v25
	v_add_f32_e32 v25, v10, v52
	v_add_f32_e32 v50, v25, v56
	v_add_f32_e32 v25, v52, v56
	v_add_u32_e32 v0, 0x1400, v76
	v_add_u32_e32 v98, 0x3c00, v76
	v_fma_f32 v10, -0.5, v25, v10
	ds_read2_b64 v[4:7], v0 offset0:110 offset1:235
	;; [unrolled: 40-line block ×3, first 2 shown]
	ds_read2_b64 v[66:69], v100 offset0:74 offset1:199
	v_add_u32_e32 v75, 0x6c00, v76
	v_sub_f32_e32 v25, v61, v65
	v_mov_b32_e32 v62, v6
	ds_read2_b64 v[70:73], v75 offset0:44 offset1:169
	v_fmac_f32_e32 v62, 0xbf5db3d7, v25
	v_fmac_f32_e32 v6, 0x3f5db3d7, v25
	v_add_f32_e32 v25, v7, v61
	v_add_f32_e32 v59, v25, v65
	v_add_f32_e32 v25, v61, v65
	v_fmac_f32_e32 v7, -0.5, v25
	v_sub_f32_e32 v25, v60, v64
	v_mov_b32_e32 v63, v7
	v_fmac_f32_e32 v63, 0x3f5db3d7, v25
	v_fmac_f32_e32 v7, 0xbf5db3d7, v25
	s_waitcnt lgkmcnt(1)
	v_add_f32_e32 v25, v0, v66
	s_waitcnt lgkmcnt(0)
	v_add_f32_e32 v60, v25, v70
	v_add_f32_e32 v25, v66, v70
	v_fma_f32 v0, -0.5, v25, v0
	v_sub_f32_e32 v25, v67, v71
	v_mov_b32_e32 v64, v0
	v_fmac_f32_e32 v64, 0xbf5db3d7, v25
	v_fmac_f32_e32 v0, 0x3f5db3d7, v25
	v_add_f32_e32 v25, v1, v67
	v_add_f32_e32 v61, v25, v71
	v_add_f32_e32 v25, v67, v71
	v_fma_f32 v1, -0.5, v25, v1
	v_sub_f32_e32 v25, v66, v70
	v_mov_b32_e32 v65, v1
	v_fmac_f32_e32 v65, 0x3f5db3d7, v25
	v_fmac_f32_e32 v1, 0xbf5db3d7, v25
	v_add_f32_e32 v25, v2, v68
	;; [unrolled: 8-line block ×3, first 2 shown]
	v_add_f32_e32 v67, v25, v73
	v_add_f32_e32 v25, v69, v73
	v_fmac_f32_e32 v3, -0.5, v25
	v_sub_f32_e32 v25, v68, v72
	v_mov_b32_e32 v71, v3
	v_fmac_f32_e32 v71, 0x3f5db3d7, v25
	v_fmac_f32_e32 v3, 0xbf5db3d7, v25
	v_mad_u32_u24 v25, v20, 24, 0
	s_barrier
	ds_write2_b64 v25, v[77:78], v[79:80] offset1:1
	ds_write_b64 v25, v[16:17] offset:16
	v_mad_i32_i24 v16, v24, 24, 0
	ds_write2_b64 v16, v[34:35], v[38:39] offset1:1
	ds_write_b64 v16, v[18:19] offset:16
	v_mad_i32_i24 v16, v33, 24, 0
	;; [unrolled: 3-line block ×4, first 2 shown]
	v_mad_i32_i24 v78, v29, 24, 0
	v_mad_i32_i24 v77, v31, 24, 0
	ds_write2_b64 v12, v[44:45], v[48:49] offset1:1
	ds_write_b64 v12, v[8:9] offset:16
	ds_write2_b64 v78, v[50:51], v[54:55] offset1:1
	ds_write_b64 v78, v[10:11] offset:16
	;; [unrolled: 2-line block ×3, first 2 shown]
	v_add_u32_e32 v4, 0x5208, v25
	ds_write2_b64 v4, v[58:59], v[62:63] offset1:1
	ds_write_b64 v25, v[6:7] offset:21016
	v_add_u32_e32 v4, 0x5dc0, v25
	ds_write2_b64 v4, v[60:61], v[64:65] offset1:1
	ds_write_b64 v25, v[0:1] offset:24016
	v_mad_i32_i24 v0, v26, 24, 0
	s_movk_i32 s4, 0xab
	ds_write2_b64 v0, v[66:67], v[70:71] offset1:1
	ds_write_b64 v0, v[2:3] offset:16
	v_mul_lo_u16_sdwa v0, v24, s4 dst_sel:DWORD dst_unused:UNUSED_PAD src0_sel:BYTE_0 src1_sel:DWORD
	v_lshrrev_b16_e32 v114, 9, v0
	v_mul_lo_u16_e32 v0, 3, v114
	v_mov_b32_e32 v105, 5
	v_sub_u16_e32 v115, v24, v0
	v_lshlrev_b32_sdwa v4, v105, v115 dst_sel:DWORD dst_unused:UNUSED_PAD src0_sel:DWORD src1_sel:BYTE_0
	s_waitcnt lgkmcnt(0)
	s_barrier
	global_load_dwordx4 v[0:3], v4, s[8:9]
	s_mov_b32 s5, 0xaaab
	v_mul_u32_u24_sdwa v5, v33, s5 dst_sel:DWORD dst_unused:UNUSED_PAD src0_sel:WORD_0 src1_sel:DWORD
	v_lshrrev_b32_e32 v112, 17, v5
	v_mul_lo_u16_e32 v5, 3, v112
	v_sub_u16_e32 v113, v33, v5
	v_lshlrev_b32_e32 v5, 5, v113
	global_load_dwordx4 v[7:10], v5, s[8:9]
	global_load_dwordx4 v[11:14], v4, s[8:9] offset:16
	global_load_dwordx4 v[15:18], v5, s[8:9] offset:16
	v_mul_u32_u24_sdwa v4, v32, s5 dst_sel:DWORD dst_unused:UNUSED_PAD src0_sel:WORD_0 src1_sel:DWORD
	v_lshrrev_b32_e32 v110, 17, v4
	v_mul_lo_u16_e32 v4, 3, v110
	v_sub_u16_e32 v111, v32, v4
	v_lshlrev_b32_e32 v4, 5, v111
	v_mul_u32_u24_sdwa v5, v27, s5 dst_sel:DWORD dst_unused:UNUSED_PAD src0_sel:WORD_0 src1_sel:DWORD
	global_load_dwordx4 v[34:37], v4, s[8:9]
	v_lshrrev_b32_e32 v108, 17, v5
	v_mul_lo_u16_e32 v5, 3, v108
	v_sub_u16_e32 v109, v27, v5
	v_lshlrev_b32_e32 v5, 5, v109
	v_add_u32_e32 v87, 0x1800, v76
	global_load_dwordx4 v[38:41], v5, s[8:9]
	global_load_dwordx4 v[42:45], v4, s[8:9] offset:16
	global_load_dwordx4 v[46:49], v5, s[8:9] offset:16
	ds_read2_b64 v[58:61], v87 offset0:107 offset1:232
	v_add_u32_e32 v89, 0x3000, v76
	ds_read2_b64 v[62:65], v89 offset0:89 offset1:214
	v_mul_lo_u16_sdwa v4, v20, s4 dst_sel:DWORD dst_unused:UNUSED_PAD src0_sel:BYTE_0 src1_sel:DWORD
	v_lshrrev_b16_e32 v104, 9, v4
	v_mul_lo_u16_e32 v4, 3, v104
	v_sub_u16_e32 v116, v20, v4
	v_add_u32_e32 v86, 0x2800, v76
	v_add_u32_e32 v88, 0x4000, v76
	;; [unrolled: 1-line block ×3, first 2 shown]
	v_lshlrev_b32_sdwa v4, v105, v116 dst_sel:DWORD dst_unused:UNUSED_PAD src0_sel:DWORD src1_sel:BYTE_0
	ds_read2_b64 v[50:53], v86 offset0:95 offset1:220
	ds_read2_b64 v[54:57], v88 offset0:77 offset1:202
	;; [unrolled: 1-line block ×3, first 2 shown]
	global_load_dwordx4 v[70:73], v4, s[8:9] offset:16
	global_load_dwordx4 v[117:120], v4, s[8:9]
	v_add_u32_e32 v91, 0x6000, v76
	v_add_u32_e32 v93, 0x3800, v76
	;; [unrolled: 1-line block ×5, first 2 shown]
	v_lshlrev_b32_e32 v25, 4, v31
	v_sub_u32_e32 v83, v77, v25
	v_lshlrev_b32_e32 v28, 4, v29
	v_add_u32_e32 v94, 0x5800, v76
	v_sub_u32_e32 v30, v78, v28
	v_lshl_add_u32 v79, v27, 3, 0
	v_lshl_add_u32 v80, v33, 3, 0
	;; [unrolled: 1-line block ×3, first 2 shown]
	s_movk_i32 s4, 0x89
	s_add_u32 s6, s8, 0x7518
	s_addc_u32 s7, s9, 0
	s_waitcnt vmcnt(9) lgkmcnt(4)
	v_mul_f32_e32 v82, v59, v1
	v_mul_f32_e32 v1, v58, v1
	v_fmac_f32_e32 v82, v58, v0
	v_fma_f32 v58, v59, v0, -v1
	s_waitcnt lgkmcnt(3)
	v_mul_f32_e32 v0, v62, v3
	v_fma_f32 v130, v63, v2, -v0
	v_mul_u32_u24_sdwa v0, v29, s5 dst_sel:DWORD dst_unused:UNUSED_PAD src0_sel:WORD_0 src1_sel:DWORD
	v_lshrrev_b32_e32 v106, 17, v0
	v_mul_lo_u16_e32 v0, 3, v106
	v_sub_u16_e32 v107, v29, v0
	v_lshlrev_b32_e32 v0, 5, v107
	global_load_dwordx4 v[122:125], v0, s[8:9] offset:16
	global_load_dwordx4 v[126:129], v0, s[8:9]
	v_mul_f32_e32 v59, v63, v3
	s_waitcnt vmcnt(10)
	v_mul_f32_e32 v0, v60, v8
	v_fmac_f32_e32 v59, v62, v2
	v_fma_f32 v131, v61, v7, -v0
	ds_read2_b64 v[0:3], v91 offset0:53 offset1:178
	v_mul_f32_e32 v4, v64, v10
	v_mul_f32_e32 v132, v65, v10
	v_fma_f32 v133, v65, v9, -v4
	s_waitcnt vmcnt(9) lgkmcnt(1)
	v_mul_f32_e32 v65, v67, v12
	v_mul_f32_e32 v4, v66, v12
	v_fmac_f32_e32 v65, v66, v11
	v_fma_f32 v66, v67, v11, -v4
	s_waitcnt lgkmcnt(0)
	v_mul_f32_e32 v67, v1, v14
	v_fmac_f32_e32 v67, v0, v13
	v_mul_f32_e32 v0, v0, v14
	v_fma_f32 v134, v1, v13, -v0
	s_waitcnt vmcnt(8)
	v_mul_f32_e32 v0, v68, v16
	v_fma_f32 v136, v69, v15, -v0
	v_mul_f32_e32 v137, v3, v18
	v_mul_f32_e32 v0, v2, v18
	v_fmac_f32_e32 v137, v2, v17
	v_fma_f32 v138, v3, v17, -v0
	ds_read2_b64 v[0:3], v93 offset0:83 offset1:208
	v_mul_f32_e32 v6, v61, v8
	v_fmac_f32_e32 v6, v60, v7
	v_fmac_f32_e32 v132, v64, v9
	ds_read2_b64 v[7:10], v92 offset0:101 offset1:226
	s_waitcnt vmcnt(7) lgkmcnt(1)
	v_mul_f32_e32 v140, v1, v37
	v_mul_f32_e32 v135, v69, v16
	v_fmac_f32_e32 v140, v0, v36
	v_mul_f32_e32 v0, v0, v37
	v_fmac_f32_e32 v135, v68, v15
	s_waitcnt lgkmcnt(0)
	v_mul_f32_e32 v139, v8, v35
	v_mul_f32_e32 v4, v7, v35
	v_fma_f32 v36, v1, v36, -v0
	s_waitcnt vmcnt(6)
	v_mul_f32_e32 v0, v9, v39
	ds_read2_b64 v[13:16], v84 offset0:65 offset1:190
	v_fmac_f32_e32 v139, v7, v34
	v_fma_f32 v7, v8, v34, -v4
	v_mul_f32_e32 v11, v10, v39
	v_fma_f32 v8, v10, v38, -v0
	v_mul_f32_e32 v12, v3, v41
	v_mul_f32_e32 v0, v2, v41
	v_fmac_f32_e32 v11, v9, v38
	v_fmac_f32_e32 v12, v2, v40
	v_fma_f32 v9, v3, v40, -v0
	ds_read2_b64 v[0:3], v85 offset0:47 offset1:172
	s_waitcnt vmcnt(5) lgkmcnt(1)
	v_mul_f32_e32 v10, v14, v43
	v_mul_f32_e32 v4, v13, v43
	v_fmac_f32_e32 v10, v13, v42
	v_fma_f32 v42, v14, v42, -v4
	ds_read_b64 v[4:5], v83
	s_waitcnt lgkmcnt(1)
	v_mul_f32_e32 v43, v1, v45
	v_fmac_f32_e32 v43, v0, v44
	v_mul_f32_e32 v0, v0, v45
	v_fma_f32 v141, v1, v44, -v0
	s_waitcnt vmcnt(4)
	v_mul_f32_e32 v0, v15, v47
	v_fma_f32 v14, v16, v46, -v0
	v_mul_f32_e32 v37, v3, v49
	v_mul_f32_e32 v0, v2, v49
	;; [unrolled: 1-line block ×3, first 2 shown]
	v_fmac_f32_e32 v37, v2, v48
	v_fma_f32 v16, v3, v48, -v0
	ds_read_b64 v[0:1], v30
	ds_read_b64 v[2:3], v79
	s_waitcnt vmcnt(2) lgkmcnt(2)
	v_mul_f32_e32 v34, v118, v5
	ds_read2_b64 v[38:41], v94 offset0:59 offset1:184
	v_fmac_f32_e32 v34, v117, v4
	v_mul_f32_e32 v4, v118, v4
	v_fma_f32 v35, v117, v5, -v4
	v_mul_f32_e32 v4, v52, v120
	v_fma_f32 v45, v53, v119, -v4
	v_fmac_f32_e32 v17, v15, v46
	v_mul_f32_e32 v44, v53, v120
	v_fmac_f32_e32 v44, v52, v119
	s_waitcnt lgkmcnt(0)
	v_mul_f32_e32 v52, v41, v73
	v_mul_f32_e32 v18, v40, v73
	v_fmac_f32_e32 v52, v40, v72
	v_fma_f32 v40, v41, v72, -v18
	s_waitcnt vmcnt(1)
	v_mul_f32_e32 v121, v39, v123
	s_waitcnt vmcnt(0)
	v_mul_f32_e32 v4, v50, v127
	v_mul_f32_e32 v15, v51, v127
	v_fma_f32 v13, v51, v126, -v4
	v_mul_f32_e32 v4, v54, v129
	v_fmac_f32_e32 v15, v50, v126
	v_fma_f32 v117, v55, v128, -v4
	v_mul_f32_e32 v50, v57, v71
	v_mul_f32_e32 v4, v56, v71
	v_fmac_f32_e32 v50, v56, v70
	v_fma_f32 v51, v57, v70, -v4
	ds_read_b64 v[4:5], v80
	ds_read_b64 v[56:57], v81
	ds_read_b64 v[18:19], v76 offset:29000
	ds_read_b64 v[48:49], v76
	v_fmac_f32_e32 v121, v38, v122
	v_mul_f32_e32 v38, v38, v123
	v_fma_f32 v119, v39, v122, -v38
	s_waitcnt lgkmcnt(1)
	v_mul_f32_e32 v122, v19, v125
	v_fmac_f32_e32 v122, v18, v124
	v_mul_f32_e32 v18, v18, v125
	v_fma_f32 v120, v19, v124, -v18
	v_add_f32_e32 v18, v44, v50
	s_waitcnt lgkmcnt(0)
	v_fma_f32 v46, -0.5, v18, v48
	v_sub_f32_e32 v18, v35, v40
	v_mov_b32_e32 v62, v46
	v_sub_f32_e32 v19, v34, v44
	v_sub_f32_e32 v38, v52, v50
	v_fmac_f32_e32 v62, 0xbf737871, v18
	v_add_f32_e32 v19, v19, v38
	v_sub_f32_e32 v38, v45, v51
	v_fmac_f32_e32 v46, 0x3f737871, v18
	v_fmac_f32_e32 v62, 0xbf167918, v38
	;; [unrolled: 1-line block ×3, first 2 shown]
	v_add_f32_e32 v39, v34, v52
	v_fmac_f32_e32 v62, 0x3e9e377a, v19
	v_fmac_f32_e32 v46, 0x3e9e377a, v19
	v_add_f32_e32 v19, v48, v34
	v_fma_f32 v48, -0.5, v39, v48
	v_mov_b32_e32 v60, v48
	v_fmac_f32_e32 v60, 0x3f737871, v38
	v_fmac_f32_e32 v48, 0xbf737871, v38
	;; [unrolled: 1-line block ×4, first 2 shown]
	v_add_f32_e32 v18, v19, v44
	v_add_f32_e32 v18, v18, v50
	v_add_f32_e32 v19, v49, v35
	v_add_f32_e32 v72, v18, v52
	v_add_f32_e32 v18, v45, v51
	v_add_f32_e32 v19, v19, v45
	v_fma_f32 v47, -0.5, v18, v49
	v_add_f32_e32 v19, v19, v51
	v_sub_f32_e32 v18, v34, v52
	v_mov_b32_e32 v63, v47
	v_sub_f32_e32 v39, v44, v34
	v_add_f32_e32 v73, v19, v40
	v_sub_f32_e32 v19, v44, v50
	v_sub_f32_e32 v34, v35, v45
	;; [unrolled: 1-line block ×3, first 2 shown]
	v_fmac_f32_e32 v63, 0x3f737871, v18
	v_fmac_f32_e32 v47, 0xbf737871, v18
	v_add_f32_e32 v34, v34, v38
	v_fmac_f32_e32 v63, 0x3f167918, v19
	v_fmac_f32_e32 v47, 0xbf167918, v19
	;; [unrolled: 1-line block ×4, first 2 shown]
	v_add_f32_e32 v34, v35, v40
	v_fmac_f32_e32 v49, -0.5, v34
	v_mov_b32_e32 v61, v49
	v_fmac_f32_e32 v61, 0xbf737871, v19
	v_fmac_f32_e32 v49, 0x3f737871, v19
	v_mul_f32_e32 v118, v55, v129
	v_fmac_f32_e32 v61, 0x3f167918, v18
	v_fmac_f32_e32 v49, 0xbf167918, v18
	v_add_f32_e32 v18, v59, v65
	v_fmac_f32_e32 v118, v54, v128
	v_sub_f32_e32 v34, v45, v35
	v_sub_f32_e32 v35, v51, v40
	v_fma_f32 v54, -0.5, v18, v56
	v_sub_f32_e32 v18, v82, v59
	v_sub_f32_e32 v19, v67, v65
	v_add_f32_e32 v34, v34, v35
	v_add_f32_e32 v18, v18, v19
	v_sub_f32_e32 v19, v58, v134
	v_mov_b32_e32 v68, v54
	v_fmac_f32_e32 v61, 0x3e9e377a, v34
	v_fmac_f32_e32 v49, 0x3e9e377a, v34
	;; [unrolled: 1-line block ×3, first 2 shown]
	v_sub_f32_e32 v34, v130, v66
	v_fmac_f32_e32 v54, 0x3f737871, v19
	v_fmac_f32_e32 v68, 0xbf167918, v34
	v_fmac_f32_e32 v54, 0x3f167918, v34
	v_add_f32_e32 v35, v82, v67
	v_fmac_f32_e32 v68, 0x3e9e377a, v18
	v_fmac_f32_e32 v54, 0x3e9e377a, v18
	v_add_f32_e32 v18, v56, v82
	v_fma_f32 v56, -0.5, v35, v56
	v_mov_b32_e32 v64, v56
	v_add_f32_e32 v18, v18, v59
	v_fmac_f32_e32 v64, 0x3f737871, v34
	v_fmac_f32_e32 v56, 0xbf737871, v34
	v_add_f32_e32 v18, v18, v65
	v_fmac_f32_e32 v64, 0xbf167918, v19
	v_fmac_f32_e32 v56, 0x3f167918, v19
	v_add_f32_e32 v19, v57, v58
	v_add_f32_e32 v70, v18, v67
	;; [unrolled: 1-line block ×3, first 2 shown]
	v_sub_f32_e32 v35, v59, v82
	v_sub_f32_e32 v38, v65, v67
	v_add_f32_e32 v19, v19, v130
	v_fma_f32 v55, -0.5, v18, v57
	v_add_f32_e32 v35, v35, v38
	v_add_f32_e32 v19, v19, v66
	v_sub_f32_e32 v18, v82, v67
	v_mov_b32_e32 v69, v55
	v_fmac_f32_e32 v64, 0x3e9e377a, v35
	v_fmac_f32_e32 v56, 0x3e9e377a, v35
	v_add_f32_e32 v71, v19, v134
	v_sub_f32_e32 v19, v59, v65
	v_sub_f32_e32 v34, v58, v130
	;; [unrolled: 1-line block ×3, first 2 shown]
	v_fmac_f32_e32 v69, 0x3f737871, v18
	v_fmac_f32_e32 v55, 0xbf737871, v18
	v_add_f32_e32 v34, v34, v35
	v_fmac_f32_e32 v69, 0x3f167918, v19
	v_fmac_f32_e32 v55, 0xbf167918, v19
	;; [unrolled: 1-line block ×4, first 2 shown]
	v_add_f32_e32 v34, v58, v134
	v_fmac_f32_e32 v57, -0.5, v34
	v_mov_b32_e32 v65, v57
	v_fmac_f32_e32 v65, 0xbf737871, v19
	v_fmac_f32_e32 v57, 0x3f737871, v19
	;; [unrolled: 1-line block ×4, first 2 shown]
	v_add_f32_e32 v18, v132, v135
	v_sub_f32_e32 v34, v130, v58
	v_sub_f32_e32 v35, v66, v134
	v_fma_f32 v40, -0.5, v18, v4
	v_sub_f32_e32 v18, v6, v132
	v_sub_f32_e32 v19, v137, v135
	v_add_f32_e32 v34, v34, v35
	v_add_f32_e32 v18, v18, v19
	v_sub_f32_e32 v19, v131, v138
	v_mov_b32_e32 v58, v40
	v_fmac_f32_e32 v65, 0x3e9e377a, v34
	v_fmac_f32_e32 v57, 0x3e9e377a, v34
	;; [unrolled: 1-line block ×3, first 2 shown]
	v_sub_f32_e32 v34, v133, v136
	v_fmac_f32_e32 v40, 0x3f737871, v19
	v_fmac_f32_e32 v58, 0xbf167918, v34
	;; [unrolled: 1-line block ×3, first 2 shown]
	v_add_f32_e32 v35, v6, v137
	v_fmac_f32_e32 v58, 0x3e9e377a, v18
	v_fmac_f32_e32 v40, 0x3e9e377a, v18
	v_add_f32_e32 v18, v4, v6
	v_fma_f32 v4, -0.5, v35, v4
	v_sub_f32_e32 v41, v50, v52
	v_mov_b32_e32 v50, v4
	v_add_f32_e32 v18, v18, v132
	v_fmac_f32_e32 v50, 0x3f737871, v34
	v_fmac_f32_e32 v4, 0xbf737871, v34
	v_add_f32_e32 v18, v18, v135
	v_fmac_f32_e32 v50, 0xbf167918, v19
	v_fmac_f32_e32 v4, 0x3f167918, v19
	v_add_f32_e32 v19, v5, v131
	v_add_f32_e32 v66, v18, v137
	v_add_f32_e32 v18, v133, v136
	v_add_f32_e32 v39, v39, v41
	v_add_f32_e32 v19, v19, v133
	v_fma_f32 v41, -0.5, v18, v5
	v_sub_f32_e32 v35, v132, v6
	v_add_f32_e32 v19, v19, v136
	v_sub_f32_e32 v6, v6, v137
	v_mov_b32_e32 v59, v41
	v_add_f32_e32 v67, v19, v138
	v_sub_f32_e32 v18, v132, v135
	v_sub_f32_e32 v19, v131, v133
	;; [unrolled: 1-line block ×3, first 2 shown]
	v_fmac_f32_e32 v59, 0x3f737871, v6
	v_fmac_f32_e32 v41, 0xbf737871, v6
	v_add_f32_e32 v19, v19, v34
	v_fmac_f32_e32 v59, 0x3f167918, v18
	v_fmac_f32_e32 v41, 0xbf167918, v18
	v_sub_f32_e32 v38, v135, v137
	v_fmac_f32_e32 v59, 0x3e9e377a, v19
	v_fmac_f32_e32 v41, 0x3e9e377a, v19
	v_add_f32_e32 v19, v131, v138
	v_add_f32_e32 v35, v35, v38
	v_fmac_f32_e32 v5, -0.5, v19
	v_sub_f32_e32 v19, v133, v131
	v_sub_f32_e32 v34, v136, v138
	v_lshl_add_u32 v82, v32, 3, 0
	v_fmac_f32_e32 v50, 0x3e9e377a, v35
	v_fmac_f32_e32 v4, 0x3e9e377a, v35
	v_add_f32_e32 v19, v19, v34
	ds_read_b64 v[34:35], v82
	v_mov_b32_e32 v51, v5
	v_fmac_f32_e32 v51, 0xbf737871, v18
	v_fmac_f32_e32 v5, 0x3f737871, v18
	;; [unrolled: 1-line block ×4, first 2 shown]
	v_sub_f32_e32 v6, v139, v140
	v_sub_f32_e32 v18, v43, v10
	v_add_f32_e32 v6, v6, v18
	v_add_f32_e32 v18, v140, v10
	s_waitcnt lgkmcnt(0)
	v_fma_f32 v18, -0.5, v18, v34
	v_fmac_f32_e32 v51, 0x3e9e377a, v19
	v_fmac_f32_e32 v5, 0x3e9e377a, v19
	v_sub_f32_e32 v19, v7, v141
	v_mov_b32_e32 v44, v18
	v_fmac_f32_e32 v60, 0x3e9e377a, v39
	v_fmac_f32_e32 v48, 0x3e9e377a, v39
	;; [unrolled: 1-line block ×3, first 2 shown]
	v_sub_f32_e32 v39, v36, v42
	v_fmac_f32_e32 v18, 0x3f737871, v19
	v_fmac_f32_e32 v44, 0xbf167918, v39
	;; [unrolled: 1-line block ×3, first 2 shown]
	v_add_f32_e32 v38, v139, v43
	v_fmac_f32_e32 v44, 0x3e9e377a, v6
	v_fmac_f32_e32 v18, 0x3e9e377a, v6
	v_add_f32_e32 v6, v34, v139
	v_fma_f32 v34, -0.5, v38, v34
	v_sub_f32_e32 v38, v140, v139
	v_sub_f32_e32 v45, v10, v43
	v_add_f32_e32 v45, v38, v45
	v_mov_b32_e32 v38, v34
	v_fmac_f32_e32 v38, 0x3f737871, v39
	v_fmac_f32_e32 v34, 0xbf737871, v39
	;; [unrolled: 1-line block ×4, first 2 shown]
	v_add_f32_e32 v6, v6, v140
	v_add_f32_e32 v19, v35, v7
	;; [unrolled: 1-line block ×8, first 2 shown]
	v_fma_f32 v19, -0.5, v6, v35
	v_fmac_f32_e32 v38, 0x3e9e377a, v45
	v_fmac_f32_e32 v34, 0x3e9e377a, v45
	v_sub_f32_e32 v6, v139, v43
	v_mov_b32_e32 v45, v19
	v_sub_f32_e32 v10, v140, v10
	v_sub_f32_e32 v39, v7, v36
	v_sub_f32_e32 v43, v141, v42
	v_fmac_f32_e32 v45, 0x3f737871, v6
	v_fmac_f32_e32 v19, 0xbf737871, v6
	v_add_f32_e32 v39, v39, v43
	v_fmac_f32_e32 v45, 0x3f167918, v10
	v_fmac_f32_e32 v19, 0xbf167918, v10
	;; [unrolled: 1-line block ×4, first 2 shown]
	v_add_f32_e32 v39, v7, v141
	v_fmac_f32_e32 v35, -0.5, v39
	v_mov_b32_e32 v39, v35
	v_sub_f32_e32 v7, v36, v7
	v_sub_f32_e32 v36, v42, v141
	v_fmac_f32_e32 v39, 0xbf737871, v10
	v_fmac_f32_e32 v35, 0x3f737871, v10
	v_add_f32_e32 v7, v7, v36
	v_fmac_f32_e32 v39, 0x3f167918, v6
	v_fmac_f32_e32 v35, 0xbf167918, v6
	;; [unrolled: 1-line block ×4, first 2 shown]
	v_sub_f32_e32 v6, v11, v12
	v_sub_f32_e32 v7, v37, v17
	v_add_f32_e32 v7, v6, v7
	v_add_f32_e32 v6, v12, v17
	v_fma_f32 v6, -0.5, v6, v2
	v_sub_f32_e32 v42, v8, v16
	v_mov_b32_e32 v36, v6
	v_fmac_f32_e32 v36, 0xbf737871, v42
	v_sub_f32_e32 v43, v9, v14
	v_fmac_f32_e32 v6, 0x3f737871, v42
	v_fmac_f32_e32 v36, 0xbf167918, v43
	;; [unrolled: 1-line block ×3, first 2 shown]
	v_add_f32_e32 v10, v11, v37
	v_fmac_f32_e32 v36, 0x3e9e377a, v7
	v_fmac_f32_e32 v6, 0x3e9e377a, v7
	v_add_f32_e32 v7, v2, v11
	v_fma_f32 v2, -0.5, v10, v2
	v_sub_f32_e32 v10, v12, v11
	v_sub_f32_e32 v123, v17, v37
	v_add_f32_e32 v123, v10, v123
	v_mov_b32_e32 v10, v2
	v_fmac_f32_e32 v10, 0x3f737871, v43
	v_fmac_f32_e32 v2, 0xbf737871, v43
	;; [unrolled: 1-line block ×4, first 2 shown]
	v_add_f32_e32 v7, v7, v12
	v_add_f32_e32 v42, v3, v8
	v_add_f32_e32 v7, v7, v17
	v_add_f32_e32 v42, v42, v9
	v_add_f32_e32 v43, v42, v14
	v_add_f32_e32 v42, v7, v37
	v_add_f32_e32 v7, v9, v14
	v_fma_f32 v7, -0.5, v7, v3
	v_fmac_f32_e32 v10, 0x3e9e377a, v123
	v_fmac_f32_e32 v2, 0x3e9e377a, v123
	v_sub_f32_e32 v123, v11, v37
	v_mov_b32_e32 v37, v7
	v_sub_f32_e32 v12, v12, v17
	v_sub_f32_e32 v11, v8, v9
	;; [unrolled: 1-line block ×3, first 2 shown]
	v_fmac_f32_e32 v37, 0x3f737871, v123
	v_fmac_f32_e32 v7, 0xbf737871, v123
	v_add_f32_e32 v11, v11, v17
	v_fmac_f32_e32 v37, 0x3f167918, v12
	v_fmac_f32_e32 v7, 0xbf167918, v12
	;; [unrolled: 1-line block ×4, first 2 shown]
	v_add_f32_e32 v11, v8, v16
	v_fmac_f32_e32 v3, -0.5, v11
	v_mov_b32_e32 v11, v3
	v_sub_f32_e32 v8, v9, v8
	v_sub_f32_e32 v9, v14, v16
	v_fmac_f32_e32 v11, 0xbf737871, v12
	v_fmac_f32_e32 v3, 0x3f737871, v12
	v_add_f32_e32 v8, v8, v9
	v_fmac_f32_e32 v11, 0x3f167918, v123
	v_fmac_f32_e32 v3, 0xbf167918, v123
	;; [unrolled: 1-line block ×4, first 2 shown]
	v_sub_f32_e32 v8, v15, v118
	v_sub_f32_e32 v9, v122, v121
	v_add_f32_e32 v9, v8, v9
	v_add_f32_e32 v8, v118, v121
	v_fma_f32 v8, -0.5, v8, v0
	v_add_f32_e32 v43, v43, v16
	v_sub_f32_e32 v16, v13, v120
	v_mov_b32_e32 v14, v8
	v_fmac_f32_e32 v14, 0xbf737871, v16
	v_sub_f32_e32 v17, v117, v119
	v_fmac_f32_e32 v8, 0x3f737871, v16
	v_fmac_f32_e32 v14, 0xbf167918, v17
	;; [unrolled: 1-line block ×3, first 2 shown]
	v_add_f32_e32 v12, v15, v122
	v_fmac_f32_e32 v14, 0x3e9e377a, v9
	v_fmac_f32_e32 v8, 0x3e9e377a, v9
	v_add_f32_e32 v9, v0, v15
	v_fma_f32 v0, -0.5, v12, v0
	v_sub_f32_e32 v12, v118, v15
	v_sub_f32_e32 v123, v121, v122
	v_add_f32_e32 v123, v12, v123
	v_mov_b32_e32 v12, v0
	v_fmac_f32_e32 v12, 0x3f737871, v17
	v_fmac_f32_e32 v0, 0xbf737871, v17
	;; [unrolled: 1-line block ×4, first 2 shown]
	v_add_f32_e32 v9, v9, v118
	v_add_f32_e32 v16, v1, v13
	;; [unrolled: 1-line block ×7, first 2 shown]
	v_fma_f32 v9, -0.5, v9, v1
	v_sub_f32_e32 v122, v15, v122
	v_sub_f32_e32 v118, v118, v121
	;; [unrolled: 1-line block ×4, first 2 shown]
	v_add_f32_e32 v121, v15, v121
	v_mov_b32_e32 v15, v9
	v_fmac_f32_e32 v15, 0x3f737871, v122
	v_fmac_f32_e32 v9, 0xbf737871, v122
	;; [unrolled: 1-line block ×6, first 2 shown]
	v_add_f32_e32 v121, v13, v120
	v_fmac_f32_e32 v1, -0.5, v121
	v_sub_f32_e32 v13, v117, v13
	v_sub_f32_e32 v117, v119, v120
	v_add_f32_e32 v117, v13, v117
	v_mov_b32_e32 v13, v1
	v_fmac_f32_e32 v13, 0xbf737871, v118
	v_fmac_f32_e32 v1, 0x3f737871, v118
	;; [unrolled: 1-line block ×6, first 2 shown]
	v_mul_u32_u24_e32 v117, 0x78, v104
	v_mov_b32_e32 v104, 3
	v_lshlrev_b32_sdwa v116, v104, v116 dst_sel:DWORD dst_unused:UNUSED_PAD src0_sel:DWORD src1_sel:BYTE_0
	v_add3_u32 v116, 0, v117, v116
	s_barrier
	ds_write2_b64 v116, v[72:73], v[62:63] offset1:3
	ds_write2_b64 v116, v[60:61], v[48:49] offset0:6 offset1:9
	ds_write_b64 v116, v[46:47] offset:96
	v_mul_u32_u24_e32 v46, 0x78, v114
	v_lshlrev_b32_sdwa v47, v104, v115 dst_sel:DWORD dst_unused:UNUSED_PAD src0_sel:DWORD src1_sel:BYTE_0
	v_add3_u32 v46, 0, v46, v47
	ds_write2_b64 v46, v[70:71], v[68:69] offset1:3
	ds_write2_b64 v46, v[64:65], v[56:57] offset0:6 offset1:9
	ds_write_b64 v46, v[54:55] offset:96
	v_mul_u32_u24_e32 v46, 0x78, v112
	v_lshlrev_b32_e32 v47, 3, v113
	v_add3_u32 v46, 0, v46, v47
	ds_write2_b64 v46, v[66:67], v[58:59] offset1:3
	ds_write2_b64 v46, v[50:51], v[4:5] offset0:6 offset1:9
	ds_write_b64 v46, v[40:41] offset:96
	v_mul_u32_u24_e32 v4, 0x78, v110
	v_lshlrev_b32_e32 v5, 3, v111
	;; [unrolled: 6-line block ×4, first 2 shown]
	v_fmac_f32_e32 v0, 0x3e9e377a, v123
	v_add_f32_e32 v17, v17, v120
	v_add3_u32 v2, 0, v2, v3
	v_fmac_f32_e32 v12, 0x3e9e377a, v123
	ds_write2_b64 v2, v[16:17], v[14:15] offset1:3
	ds_write2_b64 v2, v[12:13], v[0:1] offset0:6 offset1:9
	ds_write_b64 v2, v[8:9] offset:96
	v_mul_lo_u16_sdwa v0, v24, s4 dst_sel:DWORD dst_unused:UNUSED_PAD src0_sel:BYTE_0 src1_sel:DWORD
	v_lshrrev_b16_e32 v113, 11, v0
	v_mul_lo_u16_e32 v0, 15, v113
	v_sub_u16_e32 v114, v24, v0
	v_lshlrev_b32_sdwa v16, v105, v114 dst_sel:DWORD dst_unused:UNUSED_PAD src0_sel:DWORD src1_sel:BYTE_0
	s_waitcnt lgkmcnt(0)
	s_barrier
	global_load_dwordx4 v[0:3], v16, s[8:9] offset:96
	s_mov_b32 s5, 0x8889
	v_mul_u32_u24_sdwa v4, v33, s5 dst_sel:DWORD dst_unused:UNUSED_PAD src0_sel:WORD_0 src1_sel:DWORD
	v_lshrrev_b32_e32 v111, 19, v4
	v_mul_lo_u16_e32 v4, 15, v111
	v_sub_u16_e32 v112, v33, v4
	v_lshlrev_b32_e32 v17, 5, v112
	global_load_dwordx4 v[4:7], v17, s[8:9] offset:96
	global_load_dwordx4 v[8:11], v16, s[8:9] offset:112
	;; [unrolled: 1-line block ×3, first 2 shown]
	v_mul_u32_u24_sdwa v16, v32, s5 dst_sel:DWORD dst_unused:UNUSED_PAD src0_sel:WORD_0 src1_sel:DWORD
	v_lshrrev_b32_e32 v109, 19, v16
	v_mul_lo_u16_e32 v16, 15, v109
	v_sub_u16_e32 v110, v32, v16
	v_lshlrev_b32_e32 v46, 5, v110
	global_load_dwordx4 v[16:19], v46, s[8:9] offset:96
	v_mul_u32_u24_sdwa v34, v27, s5 dst_sel:DWORD dst_unused:UNUSED_PAD src0_sel:WORD_0 src1_sel:DWORD
	v_lshrrev_b32_e32 v107, 19, v34
	v_mul_lo_u16_e32 v34, 15, v107
	v_sub_u16_e32 v108, v27, v34
	v_lshlrev_b32_e32 v47, 5, v108
	global_load_dwordx4 v[34:37], v47, s[8:9] offset:96
	global_load_dwordx4 v[38:41], v46, s[8:9] offset:112
	;; [unrolled: 1-line block ×3, first 2 shown]
	ds_read2_b64 v[46:49], v87 offset0:107 offset1:232
	ds_read2_b64 v[50:53], v89 offset0:89 offset1:214
	v_mul_lo_u16_sdwa v54, v20, s4 dst_sel:DWORD dst_unused:UNUSED_PAD src0_sel:BYTE_0 src1_sel:DWORD
	v_lshrrev_b16_e32 v115, 11, v54
	v_mul_lo_u16_e32 v54, 15, v115
	v_sub_u16_e32 v116, v20, v54
	v_lshlrev_b32_sdwa v62, v105, v116 dst_sel:DWORD dst_unused:UNUSED_PAD src0_sel:DWORD src1_sel:BYTE_0
	global_load_dwordx4 v[54:57], v62, s[8:9] offset:112
	global_load_dwordx4 v[58:61], v62, s[8:9] offset:96
	v_mul_u32_u24_e32 v115, 0x258, v115
	v_lshlrev_b32_sdwa v116, v104, v116 dst_sel:DWORD dst_unused:UNUSED_PAD src0_sel:DWORD src1_sel:BYTE_0
	v_add3_u32 v115, 0, v115, v116
	s_movk_i32 s4, 0xdb
	s_waitcnt vmcnt(9) lgkmcnt(1)
	v_mul_f32_e32 v123, v47, v1
	v_fmac_f32_e32 v123, v46, v0
	v_mul_f32_e32 v1, v46, v1
	v_mul_u32_u24_sdwa v46, v29, s5 dst_sel:DWORD dst_unused:UNUSED_PAD src0_sel:WORD_0 src1_sel:DWORD
	v_lshrrev_b32_e32 v105, 19, v46
	v_mul_lo_u16_e32 v46, 15, v105
	v_sub_u16_e32 v106, v29, v46
	v_lshlrev_b32_e32 v46, 5, v106
	global_load_dwordx4 v[62:65], v46, s[8:9] offset:112
	global_load_dwordx4 v[66:69], v46, s[8:9] offset:96
	v_fma_f32 v46, v47, v0, -v1
	s_waitcnt lgkmcnt(0)
	v_mul_f32_e32 v47, v51, v3
	v_mul_f32_e32 v0, v50, v3
	v_fmac_f32_e32 v47, v50, v2
	v_fma_f32 v50, v51, v2, -v0
	s_waitcnt vmcnt(10)
	v_mul_f32_e32 v0, v48, v5
	v_mul_f32_e32 v51, v49, v5
	v_fma_f32 v124, v49, v4, -v0
	ds_read2_b64 v[0:3], v90 offset0:71 offset1:196
	v_fmac_f32_e32 v51, v48, v4
	v_mul_f32_e32 v125, v53, v7
	v_mul_f32_e32 v4, v52, v7
	v_fmac_f32_e32 v125, v52, v6
	v_fma_f32 v52, v53, v6, -v4
	ds_read2_b64 v[4:7], v91 offset0:53 offset1:178
	s_waitcnt vmcnt(9) lgkmcnt(1)
	v_mul_f32_e32 v53, v1, v9
	v_fmac_f32_e32 v53, v0, v8
	v_mul_f32_e32 v0, v0, v9
	v_fma_f32 v126, v1, v8, -v0
	s_waitcnt lgkmcnt(0)
	v_mul_f32_e32 v127, v5, v11
	v_mul_f32_e32 v0, v4, v11
	v_fmac_f32_e32 v127, v4, v10
	v_fma_f32 v10, v5, v10, -v0
	s_waitcnt vmcnt(8)
	v_mul_f32_e32 v128, v3, v13
	v_mul_f32_e32 v0, v2, v13
	v_fmac_f32_e32 v128, v2, v12
	v_fma_f32 v129, v3, v12, -v0
	ds_read2_b64 v[0:3], v92 offset0:101 offset1:226
	v_mul_f32_e32 v130, v7, v15
	v_mul_f32_e32 v4, v6, v15
	v_fmac_f32_e32 v130, v6, v14
	v_fma_f32 v131, v7, v14, -v4
	ds_read2_b64 v[4:7], v93 offset0:83 offset1:208
	s_waitcnt vmcnt(7) lgkmcnt(1)
	v_mul_f32_e32 v132, v1, v17
	v_fmac_f32_e32 v132, v0, v16
	v_mul_f32_e32 v0, v0, v17
	v_fma_f32 v133, v1, v16, -v0
	s_waitcnt lgkmcnt(0)
	v_mul_f32_e32 v0, v4, v19
	v_fma_f32 v135, v5, v18, -v0
	s_waitcnt vmcnt(6)
	v_mul_f32_e32 v11, v3, v35
	v_mul_f32_e32 v0, v2, v35
	;; [unrolled: 1-line block ×3, first 2 shown]
	v_fmac_f32_e32 v11, v2, v34
	v_fma_f32 v8, v3, v34, -v0
	ds_read2_b64 v[0:3], v84 offset0:65 offset1:190
	v_fmac_f32_e32 v134, v4, v18
	v_mul_f32_e32 v14, v7, v37
	v_mul_f32_e32 v4, v6, v37
	v_fmac_f32_e32 v14, v6, v36
	v_fma_f32 v9, v7, v36, -v4
	ds_read2_b64 v[4:7], v85 offset0:47 offset1:172
	s_waitcnt vmcnt(5) lgkmcnt(1)
	v_mul_f32_e32 v36, v1, v39
	v_fmac_f32_e32 v36, v0, v38
	v_mul_f32_e32 v0, v0, v39
	v_fma_f32 v136, v1, v38, -v0
	s_waitcnt lgkmcnt(0)
	v_mul_f32_e32 v0, v4, v41
	ds_read_b64 v[18:19], v83
	v_fma_f32 v138, v5, v40, -v0
	s_waitcnt vmcnt(4)
	v_mul_f32_e32 v0, v2, v43
	v_mul_f32_e32 v137, v5, v41
	v_mul_f32_e32 v17, v3, v43
	v_fma_f32 v12, v3, v42, -v0
	v_mul_f32_e32 v37, v7, v45
	v_mul_f32_e32 v0, v6, v45
	v_fmac_f32_e32 v137, v4, v40
	v_fmac_f32_e32 v17, v2, v42
	;; [unrolled: 1-line block ×3, first 2 shown]
	v_fma_f32 v16, v7, v44, -v0
	ds_read2_b64 v[4:7], v86 offset0:95 offset1:220
	ds_read_b64 v[0:1], v30
	ds_read_b64 v[2:3], v79
	s_waitcnt vmcnt(2) lgkmcnt(3)
	v_mul_f32_e32 v34, v59, v19
	v_mul_f32_e32 v13, v59, v18
	v_fmac_f32_e32 v34, v58, v18
	v_fma_f32 v18, v58, v19, -v13
	s_waitcnt lgkmcnt(2)
	v_mul_f32_e32 v19, v61, v7
	v_fmac_f32_e32 v19, v60, v6
	v_mul_f32_e32 v6, v61, v6
	v_fma_f32 v35, v60, v7, -v6
	ds_read2_b64 v[38:41], v94 offset0:59 offset1:184
	ds_read_b64 v[48:49], v76
	s_waitcnt vmcnt(0)
	v_mul_f32_e32 v15, v5, v67
	v_fmac_f32_e32 v15, v4, v66
	v_mul_f32_e32 v4, v4, v67
	v_fma_f32 v13, v5, v66, -v4
	ds_read2_b64 v[4:7], v88 offset0:77 offset1:202
	s_waitcnt lgkmcnt(2)
	v_mul_f32_e32 v121, v39, v63
	v_fmac_f32_e32 v121, v38, v62
	s_movk_i32 s5, 0x1758
	s_waitcnt lgkmcnt(0)
	v_mul_f32_e32 v118, v5, v69
	v_fmac_f32_e32 v118, v4, v68
	v_mul_f32_e32 v4, v4, v69
	v_mul_f32_e32 v42, v55, v7
	v_fma_f32 v117, v5, v68, -v4
	v_mul_f32_e32 v4, v55, v6
	v_fmac_f32_e32 v42, v54, v6
	v_fma_f32 v43, v54, v7, -v4
	v_mul_f32_e32 v54, v41, v57
	v_mul_f32_e32 v4, v40, v57
	;; [unrolled: 1-line block ×3, first 2 shown]
	v_fmac_f32_e32 v54, v40, v56
	v_fma_f32 v40, v41, v56, -v4
	ds_read_b64 v[4:5], v80
	v_fma_f32 v119, v39, v62, -v6
	ds_read_b64 v[6:7], v76 offset:29000
	v_sub_f32_e32 v38, v54, v42
	v_add_f32_e32 v39, v34, v54
	v_sub_f32_e32 v41, v42, v54
	s_waitcnt lgkmcnt(0)
	v_mul_f32_e32 v122, v7, v65
	v_fmac_f32_e32 v122, v6, v64
	v_mul_f32_e32 v6, v6, v65
	v_fma_f32 v120, v7, v64, -v6
	v_add_f32_e32 v6, v19, v42
	v_fma_f32 v44, -0.5, v6, v48
	v_sub_f32_e32 v6, v18, v40
	v_sub_f32_e32 v7, v34, v19
	v_mov_b32_e32 v66, v44
	v_add_f32_e32 v7, v7, v38
	v_fmac_f32_e32 v66, 0xbf737871, v6
	v_sub_f32_e32 v38, v35, v43
	v_fmac_f32_e32 v44, 0x3f737871, v6
	v_fmac_f32_e32 v66, 0xbf167918, v38
	;; [unrolled: 1-line block ×5, first 2 shown]
	v_add_f32_e32 v7, v48, v34
	v_fma_f32 v48, -0.5, v39, v48
	v_mov_b32_e32 v60, v48
	v_fmac_f32_e32 v60, 0x3f737871, v38
	v_fmac_f32_e32 v48, 0xbf737871, v38
	;; [unrolled: 1-line block ×4, first 2 shown]
	v_add_f32_e32 v6, v7, v19
	v_add_f32_e32 v6, v6, v42
	;; [unrolled: 1-line block ×6, first 2 shown]
	v_fma_f32 v45, -0.5, v6, v49
	v_add_f32_e32 v7, v7, v43
	v_sub_f32_e32 v6, v34, v54
	v_mov_b32_e32 v67, v45
	v_sub_f32_e32 v39, v19, v34
	v_add_f32_e32 v73, v7, v40
	v_sub_f32_e32 v7, v19, v42
	v_sub_f32_e32 v19, v18, v35
	;; [unrolled: 1-line block ×3, first 2 shown]
	v_fmac_f32_e32 v67, 0x3f737871, v6
	v_fmac_f32_e32 v45, 0xbf737871, v6
	v_add_f32_e32 v19, v19, v34
	v_fmac_f32_e32 v67, 0x3f167918, v7
	v_fmac_f32_e32 v45, 0xbf167918, v7
	;; [unrolled: 1-line block ×4, first 2 shown]
	v_add_f32_e32 v19, v18, v40
	ds_read_b64 v[54:55], v81
	v_fmac_f32_e32 v49, -0.5, v19
	v_mov_b32_e32 v61, v49
	v_fmac_f32_e32 v61, 0xbf737871, v7
	v_fmac_f32_e32 v49, 0x3f737871, v7
	v_sub_f32_e32 v18, v35, v18
	v_sub_f32_e32 v19, v43, v40
	v_fmac_f32_e32 v61, 0x3f167918, v6
	v_fmac_f32_e32 v49, 0xbf167918, v6
	v_add_f32_e32 v6, v47, v53
	v_add_f32_e32 v18, v18, v19
	s_waitcnt lgkmcnt(0)
	v_fma_f32 v56, -0.5, v6, v54
	v_fmac_f32_e32 v61, 0x3e9e377a, v18
	v_fmac_f32_e32 v49, 0x3e9e377a, v18
	v_sub_f32_e32 v7, v123, v47
	v_sub_f32_e32 v18, v127, v53
	;; [unrolled: 1-line block ×3, first 2 shown]
	v_mov_b32_e32 v68, v56
	v_add_f32_e32 v7, v7, v18
	v_fmac_f32_e32 v68, 0xbf737871, v6
	v_sub_f32_e32 v18, v50, v126
	v_fmac_f32_e32 v56, 0x3f737871, v6
	v_fmac_f32_e32 v68, 0xbf167918, v18
	;; [unrolled: 1-line block ×3, first 2 shown]
	v_add_f32_e32 v19, v123, v127
	v_fmac_f32_e32 v68, 0x3e9e377a, v7
	v_fmac_f32_e32 v56, 0x3e9e377a, v7
	v_add_f32_e32 v7, v54, v123
	v_fma_f32 v54, -0.5, v19, v54
	v_mov_b32_e32 v62, v54
	v_fmac_f32_e32 v62, 0x3f737871, v18
	v_fmac_f32_e32 v54, 0xbf737871, v18
	;; [unrolled: 1-line block ×4, first 2 shown]
	v_add_f32_e32 v6, v7, v47
	v_add_f32_e32 v6, v6, v53
	;; [unrolled: 1-line block ×5, first 2 shown]
	v_sub_f32_e32 v19, v47, v123
	v_sub_f32_e32 v34, v53, v127
	v_add_f32_e32 v7, v7, v50
	v_fma_f32 v57, -0.5, v6, v55
	v_add_f32_e32 v19, v19, v34
	v_add_f32_e32 v7, v7, v126
	v_sub_f32_e32 v6, v123, v127
	v_mov_b32_e32 v69, v57
	v_fmac_f32_e32 v62, 0x3e9e377a, v19
	v_fmac_f32_e32 v54, 0x3e9e377a, v19
	v_add_f32_e32 v71, v7, v10
	v_sub_f32_e32 v7, v47, v53
	v_sub_f32_e32 v18, v46, v50
	;; [unrolled: 1-line block ×3, first 2 shown]
	v_fmac_f32_e32 v69, 0x3f737871, v6
	v_fmac_f32_e32 v57, 0xbf737871, v6
	v_add_f32_e32 v18, v18, v19
	v_fmac_f32_e32 v69, 0x3f167918, v7
	v_fmac_f32_e32 v57, 0xbf167918, v7
	;; [unrolled: 1-line block ×4, first 2 shown]
	v_add_f32_e32 v18, v46, v10
	v_fmac_f32_e32 v55, -0.5, v18
	v_mov_b32_e32 v63, v55
	v_fmac_f32_e32 v63, 0xbf737871, v7
	v_fmac_f32_e32 v55, 0x3f737871, v7
	v_sub_f32_e32 v18, v50, v46
	v_sub_f32_e32 v10, v126, v10
	v_fmac_f32_e32 v63, 0x3f167918, v6
	v_fmac_f32_e32 v55, 0xbf167918, v6
	v_add_f32_e32 v6, v125, v128
	v_add_f32_e32 v10, v18, v10
	v_fma_f32 v42, -0.5, v6, v4
	v_fmac_f32_e32 v63, 0x3e9e377a, v10
	v_fmac_f32_e32 v55, 0x3e9e377a, v10
	v_sub_f32_e32 v7, v51, v125
	v_sub_f32_e32 v10, v130, v128
	;; [unrolled: 1-line block ×3, first 2 shown]
	v_mov_b32_e32 v58, v42
	v_add_f32_e32 v7, v7, v10
	v_fmac_f32_e32 v58, 0xbf737871, v6
	v_sub_f32_e32 v10, v52, v129
	v_fmac_f32_e32 v42, 0x3f737871, v6
	v_fmac_f32_e32 v58, 0xbf167918, v10
	;; [unrolled: 1-line block ×3, first 2 shown]
	v_add_f32_e32 v18, v51, v130
	v_fmac_f32_e32 v58, 0x3e9e377a, v7
	v_fmac_f32_e32 v42, 0x3e9e377a, v7
	v_add_f32_e32 v7, v4, v51
	v_fma_f32 v4, -0.5, v18, v4
	v_mov_b32_e32 v50, v4
	v_fmac_f32_e32 v50, 0x3f737871, v10
	v_fmac_f32_e32 v4, 0xbf737871, v10
	;; [unrolled: 1-line block ×4, first 2 shown]
	v_add_f32_e32 v6, v7, v125
	v_add_f32_e32 v6, v6, v128
	;; [unrolled: 1-line block ×5, first 2 shown]
	v_sub_f32_e32 v18, v125, v51
	v_sub_f32_e32 v19, v128, v130
	v_add_f32_e32 v7, v7, v52
	v_fma_f32 v43, -0.5, v6, v5
	v_add_f32_e32 v18, v18, v19
	v_add_f32_e32 v7, v7, v129
	v_sub_f32_e32 v6, v51, v130
	v_mov_b32_e32 v59, v43
	v_fmac_f32_e32 v50, 0x3e9e377a, v18
	v_fmac_f32_e32 v4, 0x3e9e377a, v18
	v_add_f32_e32 v65, v7, v131
	v_sub_f32_e32 v7, v125, v128
	v_sub_f32_e32 v10, v124, v52
	;; [unrolled: 1-line block ×3, first 2 shown]
	v_fmac_f32_e32 v59, 0x3f737871, v6
	v_fmac_f32_e32 v43, 0xbf737871, v6
	v_add_f32_e32 v10, v10, v18
	v_fmac_f32_e32 v59, 0x3f167918, v7
	v_fmac_f32_e32 v43, 0xbf167918, v7
	;; [unrolled: 1-line block ×4, first 2 shown]
	v_add_f32_e32 v10, v124, v131
	v_fmac_f32_e32 v5, -0.5, v10
	ds_read_b64 v[34:35], v82
	v_mov_b32_e32 v51, v5
	v_fmac_f32_e32 v51, 0xbf737871, v7
	v_fmac_f32_e32 v5, 0x3f737871, v7
	;; [unrolled: 1-line block ×4, first 2 shown]
	v_sub_f32_e32 v6, v132, v134
	v_sub_f32_e32 v7, v137, v36
	;; [unrolled: 1-line block ×4, first 2 shown]
	v_add_f32_e32 v6, v6, v7
	v_add_f32_e32 v7, v134, v36
	;; [unrolled: 1-line block ×3, first 2 shown]
	s_waitcnt lgkmcnt(0)
	v_fma_f32 v18, -0.5, v7, v34
	v_sub_f32_e32 v7, v133, v138
	v_mov_b32_e32 v46, v18
	v_fmac_f32_e32 v51, 0x3e9e377a, v10
	v_fmac_f32_e32 v5, 0x3e9e377a, v10
	;; [unrolled: 1-line block ×3, first 2 shown]
	v_sub_f32_e32 v10, v135, v136
	v_fmac_f32_e32 v18, 0x3f737871, v7
	v_fmac_f32_e32 v46, 0xbf167918, v10
	;; [unrolled: 1-line block ×3, first 2 shown]
	v_add_f32_e32 v19, v132, v137
	v_fmac_f32_e32 v46, 0x3e9e377a, v6
	v_fmac_f32_e32 v18, 0x3e9e377a, v6
	v_add_f32_e32 v6, v34, v132
	v_fma_f32 v34, -0.5, v19, v34
	v_sub_f32_e32 v19, v134, v132
	v_sub_f32_e32 v38, v36, v137
	v_add_f32_e32 v19, v19, v38
	v_mov_b32_e32 v38, v34
	v_add_f32_e32 v6, v6, v134
	v_fmac_f32_e32 v38, 0x3f737871, v10
	v_fmac_f32_e32 v34, 0xbf737871, v10
	v_add_f32_e32 v6, v6, v36
	v_fmac_f32_e32 v38, 0xbf167918, v7
	v_fmac_f32_e32 v34, 0x3f167918, v7
	v_add_f32_e32 v7, v35, v133
	v_add_f32_e32 v52, v6, v137
	;; [unrolled: 1-line block ×3, first 2 shown]
	v_fmac_f32_e32 v38, 0x3e9e377a, v19
	v_fmac_f32_e32 v34, 0x3e9e377a, v19
	v_add_f32_e32 v7, v7, v135
	v_fma_f32 v19, -0.5, v6, v35
	v_add_f32_e32 v7, v7, v136
	v_sub_f32_e32 v6, v132, v137
	v_mov_b32_e32 v47, v19
	v_add_f32_e32 v53, v7, v138
	v_sub_f32_e32 v7, v134, v36
	v_sub_f32_e32 v10, v133, v135
	;; [unrolled: 1-line block ×3, first 2 shown]
	v_fmac_f32_e32 v47, 0x3f737871, v6
	v_fmac_f32_e32 v19, 0xbf737871, v6
	v_add_f32_e32 v10, v10, v36
	v_fmac_f32_e32 v47, 0x3f167918, v7
	v_fmac_f32_e32 v19, 0xbf167918, v7
	;; [unrolled: 1-line block ×4, first 2 shown]
	v_add_f32_e32 v10, v133, v138
	v_add_f32_e32 v39, v39, v41
	v_fmac_f32_e32 v35, -0.5, v10
	v_fmac_f32_e32 v60, 0x3e9e377a, v39
	v_fmac_f32_e32 v48, 0x3e9e377a, v39
	v_mov_b32_e32 v39, v35
	v_fmac_f32_e32 v39, 0xbf737871, v7
	v_fmac_f32_e32 v35, 0x3f737871, v7
	;; [unrolled: 1-line block ×4, first 2 shown]
	v_sub_f32_e32 v6, v11, v14
	v_sub_f32_e32 v7, v37, v17
	v_add_f32_e32 v7, v6, v7
	v_add_f32_e32 v6, v14, v17
	v_sub_f32_e32 v10, v135, v133
	v_sub_f32_e32 v36, v136, v138
	v_fma_f32 v6, -0.5, v6, v2
	v_add_f32_e32 v10, v10, v36
	v_sub_f32_e32 v40, v8, v16
	v_mov_b32_e32 v36, v6
	v_fmac_f32_e32 v36, 0xbf737871, v40
	v_sub_f32_e32 v41, v9, v12
	v_fmac_f32_e32 v6, 0x3f737871, v40
	v_fmac_f32_e32 v39, 0x3e9e377a, v10
	;; [unrolled: 1-line block ×5, first 2 shown]
	v_add_f32_e32 v10, v11, v37
	v_fmac_f32_e32 v36, 0x3e9e377a, v7
	v_fmac_f32_e32 v6, 0x3e9e377a, v7
	v_add_f32_e32 v7, v2, v11
	v_fma_f32 v2, -0.5, v10, v2
	v_sub_f32_e32 v10, v14, v11
	v_sub_f32_e32 v123, v17, v37
	v_add_f32_e32 v123, v10, v123
	v_mov_b32_e32 v10, v2
	v_fmac_f32_e32 v10, 0x3f737871, v41
	v_fmac_f32_e32 v2, 0xbf737871, v41
	;; [unrolled: 1-line block ×4, first 2 shown]
	v_add_f32_e32 v7, v7, v14
	v_add_f32_e32 v40, v3, v8
	;; [unrolled: 1-line block ×7, first 2 shown]
	v_fma_f32 v7, -0.5, v7, v3
	v_fmac_f32_e32 v10, 0x3e9e377a, v123
	v_fmac_f32_e32 v2, 0x3e9e377a, v123
	v_sub_f32_e32 v123, v11, v37
	v_mov_b32_e32 v37, v7
	v_sub_f32_e32 v14, v14, v17
	v_sub_f32_e32 v11, v8, v9
	;; [unrolled: 1-line block ×3, first 2 shown]
	v_fmac_f32_e32 v37, 0x3f737871, v123
	v_fmac_f32_e32 v7, 0xbf737871, v123
	v_add_f32_e32 v11, v11, v17
	v_fmac_f32_e32 v37, 0x3f167918, v14
	v_fmac_f32_e32 v7, 0xbf167918, v14
	;; [unrolled: 1-line block ×4, first 2 shown]
	v_add_f32_e32 v11, v8, v16
	v_fmac_f32_e32 v3, -0.5, v11
	v_mov_b32_e32 v11, v3
	v_sub_f32_e32 v8, v9, v8
	v_sub_f32_e32 v9, v12, v16
	v_fmac_f32_e32 v11, 0xbf737871, v14
	v_fmac_f32_e32 v3, 0x3f737871, v14
	v_add_f32_e32 v8, v8, v9
	v_fmac_f32_e32 v11, 0x3f167918, v123
	v_fmac_f32_e32 v3, 0xbf167918, v123
	;; [unrolled: 1-line block ×4, first 2 shown]
	v_sub_f32_e32 v8, v15, v118
	v_sub_f32_e32 v9, v122, v121
	v_add_f32_e32 v9, v8, v9
	v_add_f32_e32 v8, v118, v121
	v_fma_f32 v8, -0.5, v8, v0
	v_add_f32_e32 v41, v41, v16
	v_sub_f32_e32 v16, v13, v120
	v_mov_b32_e32 v14, v8
	v_fmac_f32_e32 v14, 0xbf737871, v16
	v_sub_f32_e32 v17, v117, v119
	v_fmac_f32_e32 v8, 0x3f737871, v16
	v_fmac_f32_e32 v14, 0xbf167918, v17
	;; [unrolled: 1-line block ×3, first 2 shown]
	v_add_f32_e32 v12, v15, v122
	v_fmac_f32_e32 v14, 0x3e9e377a, v9
	v_fmac_f32_e32 v8, 0x3e9e377a, v9
	v_add_f32_e32 v9, v0, v15
	v_fma_f32 v0, -0.5, v12, v0
	v_sub_f32_e32 v12, v118, v15
	v_sub_f32_e32 v123, v121, v122
	v_add_f32_e32 v123, v12, v123
	v_mov_b32_e32 v12, v0
	v_fmac_f32_e32 v12, 0x3f737871, v17
	v_fmac_f32_e32 v0, 0xbf737871, v17
	;; [unrolled: 1-line block ×4, first 2 shown]
	v_add_f32_e32 v9, v9, v118
	v_add_f32_e32 v16, v1, v13
	;; [unrolled: 1-line block ×7, first 2 shown]
	s_barrier
	ds_write2_b64 v115, v[72:73], v[66:67] offset1:15
	ds_write2_b64 v115, v[60:61], v[48:49] offset0:30 offset1:45
	ds_write_b64 v115, v[44:45] offset:480
	v_mul_u32_u24_e32 v44, 0x258, v113
	v_lshlrev_b32_sdwa v45, v104, v114 dst_sel:DWORD dst_unused:UNUSED_PAD src0_sel:DWORD src1_sel:BYTE_0
	v_fma_f32 v9, -0.5, v9, v1
	v_sub_f32_e32 v122, v15, v122
	v_sub_f32_e32 v118, v118, v121
	;; [unrolled: 1-line block ×4, first 2 shown]
	v_add3_u32 v44, 0, v44, v45
	v_add_f32_e32 v121, v15, v121
	v_mov_b32_e32 v15, v9
	ds_write2_b64 v44, v[70:71], v[68:69] offset1:15
	ds_write2_b64 v44, v[62:63], v[54:55] offset0:30 offset1:45
	ds_write_b64 v44, v[56:57] offset:480
	v_mul_u32_u24_e32 v44, 0x258, v111
	v_lshlrev_b32_e32 v45, 3, v112
	v_fmac_f32_e32 v15, 0x3f737871, v122
	v_fmac_f32_e32 v9, 0xbf737871, v122
	v_add3_u32 v44, 0, v44, v45
	v_fmac_f32_e32 v15, 0x3f167918, v118
	v_fmac_f32_e32 v9, 0xbf167918, v118
	ds_write2_b64 v44, v[64:65], v[58:59] offset1:15
	ds_write2_b64 v44, v[50:51], v[4:5] offset0:30 offset1:45
	ds_write_b64 v44, v[42:43] offset:480
	v_mul_u32_u24_e32 v4, 0x258, v109
	v_lshlrev_b32_e32 v5, 3, v110
	v_fmac_f32_e32 v15, 0x3e9e377a, v121
	v_fmac_f32_e32 v9, 0x3e9e377a, v121
	v_add_f32_e32 v121, v13, v120
	v_add3_u32 v4, 0, v4, v5
	v_fmac_f32_e32 v1, -0.5, v121
	v_sub_f32_e32 v13, v117, v13
	v_sub_f32_e32 v117, v119, v120
	ds_write2_b64 v4, v[52:53], v[46:47] offset1:15
	ds_write2_b64 v4, v[38:39], v[34:35] offset0:30 offset1:45
	ds_write_b64 v4, v[18:19] offset:480
	v_mul_u32_u24_e32 v4, 0x258, v107
	v_lshlrev_b32_e32 v5, 3, v108
	v_add_f32_e32 v117, v13, v117
	v_mov_b32_e32 v13, v1
	v_fmac_f32_e32 v1, 0x3f737871, v118
	v_add3_u32 v4, 0, v4, v5
	v_fmac_f32_e32 v13, 0xbf737871, v118
	v_fmac_f32_e32 v1, 0xbf167918, v122
	ds_write2_b64 v4, v[40:41], v[36:37] offset1:15
	ds_write2_b64 v4, v[10:11], v[2:3] offset0:30 offset1:45
	ds_write_b64 v4, v[6:7] offset:480
	v_mul_u32_u24_e32 v2, 0x258, v105
	v_lshlrev_b32_e32 v3, 3, v106
	v_add_f32_e32 v17, v17, v120
	v_fmac_f32_e32 v13, 0x3f167918, v122
	v_fmac_f32_e32 v1, 0x3e9e377a, v117
	v_add3_u32 v2, 0, v2, v3
	v_fmac_f32_e32 v12, 0x3e9e377a, v123
	v_fmac_f32_e32 v0, 0x3e9e377a, v123
	;; [unrolled: 1-line block ×3, first 2 shown]
	ds_write2_b64 v2, v[16:17], v[14:15] offset1:15
	ds_write2_b64 v2, v[12:13], v[0:1] offset0:30 offset1:45
	ds_write_b64 v2, v[8:9] offset:480
	v_mul_lo_u16_sdwa v1, v24, s4 dst_sel:DWORD dst_unused:UNUSED_PAD src0_sel:BYTE_0 src1_sel:DWORD
	v_lshrrev_b16_e32 v109, 14, v1
	v_mul_lo_u16_e32 v1, 0x4b, v109
	v_sub_u16_e32 v108, v24, v1
	v_mov_b32_e32 v1, 9
	v_mul_u32_u24_sdwa v1, v108, v1 dst_sel:DWORD dst_unused:UNUSED_PAD src0_sel:BYTE_0 src1_sel:DWORD
	s_mov_b32 s4, 0xb4e9
	v_lshlrev_b32_e32 v73, 3, v1
	v_mul_u32_u24_sdwa v1, v33, s4 dst_sel:DWORD dst_unused:UNUSED_PAD src0_sel:WORD_0 src1_sel:DWORD
	v_sub_u16_sdwa v6, v33, v1 dst_sel:DWORD dst_unused:UNUSED_PAD src0_sel:DWORD src1_sel:WORD_1
	v_lshrrev_b16_e32 v6, 1, v6
	v_add_u16_sdwa v1, v6, v1 dst_sel:DWORD dst_unused:UNUSED_PAD src0_sel:DWORD src1_sel:WORD_1
	v_lshrrev_b16_e32 v106, 6, v1
	v_mul_lo_u16_e32 v1, 0x4b, v106
	v_sub_u16_e32 v107, v33, v1
	s_waitcnt lgkmcnt(0)
	s_barrier
	global_load_dwordx4 v[2:5], v73, s[8:9] offset:576
	v_mul_u32_u24_e32 v1, 9, v107
	v_lshlrev_b32_e32 v121, 3, v1
	global_load_dwordx4 v[14:17], v121, s[8:9] offset:576
	s_movk_i32 s4, 0x4b
	v_add_u32_e32 v0, 0xffffffb5, v20
	v_cmp_gt_u32_e32 vcc, s4, v20
	v_cndmask_b32_e32 v110, v0, v20, vcc
	v_mul_i32_i24_e32 v0, 9, v110
	v_mov_b32_e32 v1, 0
	v_lshlrev_b64 v[6:7], 3, v[0:1]
	v_mov_b32_e32 v105, s9
	v_add_co_u32_e32 v6, vcc, s8, v6
	v_addc_co_u32_e32 v7, vcc, v105, v7, vcc
	global_load_dwordx4 v[35:38], v[6:7], off offset:576
	global_load_dwordx4 v[39:42], v[6:7], off offset:592
	global_load_dwordx4 v[43:46], v73, s[8:9] offset:592
	global_load_dwordx4 v[49:52], v121, s[8:9] offset:592
	global_load_dwordx4 v[53:56], v[6:7], off offset:608
	global_load_dwordx4 v[57:60], v73, s[8:9] offset:608
	global_load_dwordx4 v[61:64], v[6:7], off offset:624
	global_load_dwordx2 v[119:120], v[6:7], off offset:640
	ds_read_b64 v[18:19], v83
	ds_read2_b64 v[6:9], v103 offset0:116 offset1:241
	global_load_dwordx4 v[65:68], v121, s[8:9] offset:624
	global_load_dwordx4 v[69:72], v121, s[8:9] offset:608
	ds_read2_b64 v[111:114], v87 offset0:107 offset1:232
	ds_read_b64 v[47:48], v82
	global_load_dwordx4 v[115:118], v73, s[8:9] offset:624
	v_lshl_add_u32 v103, v26, 3, 0
	s_movk_i32 s4, 0x4a
	v_cmp_lt_u32_e32 vcc, s4, v20
	s_movk_i32 s4, 0x1000
	s_waitcnt vmcnt(12) lgkmcnt(2)
	v_mul_f32_e32 v0, v6, v3
	v_mul_f32_e32 v10, v7, v3
	v_fma_f32 v11, v7, v2, -v0
	s_waitcnt lgkmcnt(1)
	v_mul_f32_e32 v0, v111, v5
	v_fmac_f32_e32 v10, v6, v2
	v_fma_f32 v12, v112, v4, -v0
	s_waitcnt vmcnt(11)
	v_mul_f32_e32 v0, v9, v15
	v_mul_f32_e32 v2, v8, v15
	;; [unrolled: 1-line block ×3, first 2 shown]
	s_waitcnt vmcnt(10) lgkmcnt(0)
	v_mul_f32_e32 v34, v36, v48
	v_mul_f32_e32 v15, v36, v47
	v_fmac_f32_e32 v0, v8, v14
	v_fma_f32 v8, v9, v14, -v2
	v_mul_f32_e32 v14, v114, v17
	v_mul_f32_e32 v2, v113, v17
	v_fmac_f32_e32 v34, v35, v47
	v_fma_f32 v35, v35, v48, -v15
	v_mul_f32_e32 v123, v38, v19
	v_mul_f32_e32 v15, v38, v18
	v_fmac_f32_e32 v13, v111, v4
	v_fmac_f32_e32 v14, v113, v16
	v_fma_f32 v9, v114, v16, -v2
	ds_read2_b32 v[111:112], v103 offset1:1
	ds_read2_b64 v[4:7], v102 offset0:92 offset1:217
	ds_read_b64 v[2:3], v80
	v_fmac_f32_e32 v123, v37, v18
	v_fma_f32 v124, v37, v19, -v15
	ds_read2_b64 v[16:19], v101 offset0:98 offset1:223
	global_load_dwordx2 v[101:102], v73, s[8:9] offset:640
	s_waitcnt vmcnt(10) lgkmcnt(3)
	v_mul_f32_e32 v15, v40, v111
	global_load_dwordx2 v[121:122], v121, s[8:9] offset:640
	s_waitcnt lgkmcnt(2)
	v_mul_f32_e32 v73, v5, v42
	v_fmac_f32_e32 v73, v4, v41
	v_mul_f32_e32 v4, v4, v42
	v_mul_f32_e32 v48, v112, v40
	v_fma_f32 v40, v112, v39, -v15
	v_fma_f32 v125, v5, v41, -v4
	s_waitcnt vmcnt(10)
	v_mul_f32_e32 v15, v7, v46
	v_mul_f32_e32 v4, v6, v46
	v_fmac_f32_e32 v15, v6, v45
	v_fma_f32 v45, v7, v45, -v4
	ds_read2_b64 v[4:7], v99 offset0:86 offset1:211
	s_waitcnt lgkmcnt(1)
	v_mul_f32_e32 v42, v17, v44
	v_fmac_f32_e32 v48, v39, v111
	v_fmac_f32_e32 v42, v16, v43
	v_mul_f32_e32 v16, v16, v44
	s_waitcnt vmcnt(9) lgkmcnt(0)
	v_mul_f32_e32 v99, v5, v52
	ds_read2_b64 v[111:114], v100 offset0:74 offset1:199
	v_fmac_f32_e32 v99, v4, v51
	v_mul_f32_e32 v4, v4, v52
	v_fma_f32 v41, v17, v43, -v16
	v_mul_f32_e32 v17, v19, v50
	v_mul_f32_e32 v16, v18, v50
	s_waitcnt vmcnt(8)
	v_mul_f32_e32 v126, v7, v54
	v_fma_f32 v37, v5, v51, -v4
	v_mul_f32_e32 v4, v6, v54
	v_fmac_f32_e32 v17, v18, v49
	v_fma_f32 v16, v19, v49, -v16
	v_fmac_f32_e32 v126, v6, v53
	v_fma_f32 v127, v7, v53, -v4
	ds_read_b64 v[6:7], v76
	ds_read_b64 v[4:5], v81
	ds_read2_b64 v[49:52], v98 offset0:80 offset1:205
	s_waitcnt lgkmcnt(3)
	v_mul_f32_e32 v18, v111, v56
	v_mul_f32_e32 v128, v112, v56
	v_fma_f32 v129, v112, v55, -v18
	s_waitcnt vmcnt(7)
	v_mul_f32_e32 v18, v113, v60
	v_fmac_f32_e32 v128, v111, v55
	v_mul_f32_e32 v55, v114, v60
	v_fma_f32 v54, v114, v59, -v18
	s_waitcnt lgkmcnt(0)
	v_mul_f32_e32 v44, v50, v58
	v_mul_f32_e32 v18, v49, v58
	v_fmac_f32_e32 v55, v113, v59
	v_fmac_f32_e32 v44, v49, v57
	v_fma_f32 v43, v50, v57, -v18
	ds_read2_b64 v[56:59], v95 offset0:68 offset1:193
	s_waitcnt vmcnt(3)
	v_mul_f32_e32 v19, v52, v70
	v_mul_f32_e32 v18, v51, v70
	v_fmac_f32_e32 v19, v51, v69
	v_fma_f32 v18, v52, v69, -v18
	ds_read2_b64 v[49:52], v97 offset0:56 offset1:181
	s_waitcnt lgkmcnt(1)
	v_mul_f32_e32 v36, v56, v72
	v_mul_f32_e32 v98, v57, v72
	v_fma_f32 v97, v57, v71, -v36
	v_mul_f32_e32 v130, v59, v62
	v_mul_f32_e32 v36, v58, v62
	v_fmac_f32_e32 v98, v56, v71
	v_fmac_f32_e32 v130, v58, v61
	v_fma_f32 v62, v59, v61, -v36
	ds_read2_b64 v[58:61], v96 offset0:50 offset1:175
	ds_read2_b64 v[69:72], v74 offset0:62 offset1:187
	;; [unrolled: 1-line block ×3, first 2 shown]
	s_waitcnt lgkmcnt(3)
	v_mul_f32_e32 v131, v50, v64
	v_mul_f32_e32 v36, v49, v64
	v_fmac_f32_e32 v131, v49, v63
	v_fma_f32 v49, v50, v63, -v36
	s_waitcnt vmcnt(2)
	v_mul_f32_e32 v36, v51, v118
	v_fma_f32 v56, v52, v117, -v36
	s_waitcnt lgkmcnt(1)
	v_mul_f32_e32 v36, v69, v116
	v_mul_f32_e32 v38, v58, v68
	v_mul_f32_e32 v57, v52, v118
	v_fma_f32 v46, v70, v115, -v36
	v_mul_f32_e32 v36, v60, v120
	v_mul_f32_e32 v100, v59, v68
	v_fma_f32 v96, v59, v67, -v38
	v_add_f32_e32 v59, v73, v128
	v_fmac_f32_e32 v57, v51, v117
	v_mul_f32_e32 v50, v61, v120
	v_fma_f32 v51, v61, v119, -v36
	s_waitcnt vmcnt(1) lgkmcnt(0)
	v_mul_f32_e32 v36, v111, v102
	v_fma_f32 v59, -0.5, v59, v6
	v_fmac_f32_e32 v50, v60, v119
	v_fma_f32 v47, v112, v101, -v36
	v_mul_f32_e32 v39, v72, v66
	v_mul_f32_e32 v36, v71, v66
	v_sub_f32_e32 v60, v124, v49
	v_mov_b32_e32 v61, v59
	v_fmac_f32_e32 v39, v71, v65
	v_fma_f32 v36, v72, v65, -v36
	v_fmac_f32_e32 v61, 0xbf737871, v60
	v_sub_f32_e32 v63, v125, v129
	v_sub_f32_e32 v64, v123, v73
	;; [unrolled: 1-line block ×3, first 2 shown]
	v_fmac_f32_e32 v59, 0x3f737871, v60
	v_fmac_f32_e32 v61, 0xbf167918, v63
	v_add_f32_e32 v64, v64, v65
	v_fmac_f32_e32 v59, 0x3f167918, v63
	v_fmac_f32_e32 v61, 0x3e9e377a, v64
	;; [unrolled: 1-line block ×3, first 2 shown]
	v_add_f32_e32 v64, v123, v131
	v_fmac_f32_e32 v100, v58, v67
	v_add_f32_e32 v58, v6, v123
	v_fma_f32 v6, -0.5, v64, v6
	v_mov_b32_e32 v71, v6
	v_fmac_f32_e32 v71, 0x3f737871, v63
	v_fmac_f32_e32 v6, 0xbf737871, v63
	;; [unrolled: 1-line block ×4, first 2 shown]
	v_add_f32_e32 v60, v7, v124
	v_add_f32_e32 v60, v60, v125
	;; [unrolled: 1-line block ×3, first 2 shown]
	v_mul_f32_e32 v53, v112, v102
	v_add_f32_e32 v63, v60, v49
	v_add_f32_e32 v60, v125, v129
	v_fmac_f32_e32 v53, v111, v101
	v_sub_f32_e32 v64, v73, v123
	v_sub_f32_e32 v65, v128, v131
	v_fma_f32 v101, -0.5, v60, v7
	v_add_f32_e32 v64, v64, v65
	v_sub_f32_e32 v60, v123, v131
	v_mov_b32_e32 v102, v101
	v_fmac_f32_e32 v71, 0x3e9e377a, v64
	v_fmac_f32_e32 v6, 0x3e9e377a, v64
	;; [unrolled: 1-line block ×3, first 2 shown]
	v_sub_f32_e32 v64, v73, v128
	v_sub_f32_e32 v65, v124, v125
	;; [unrolled: 1-line block ×3, first 2 shown]
	v_fmac_f32_e32 v101, 0xbf737871, v60
	v_fmac_f32_e32 v102, 0x3f167918, v64
	v_add_f32_e32 v65, v65, v66
	v_fmac_f32_e32 v101, 0xbf167918, v64
	v_fmac_f32_e32 v102, 0x3e9e377a, v65
	;; [unrolled: 1-line block ×3, first 2 shown]
	v_add_f32_e32 v65, v124, v49
	v_fmac_f32_e32 v7, -0.5, v65
	v_mov_b32_e32 v111, v7
	v_fmac_f32_e32 v111, 0xbf737871, v64
	v_fmac_f32_e32 v7, 0x3f737871, v64
	;; [unrolled: 1-line block ×4, first 2 shown]
	v_add_f32_e32 v60, v126, v130
	v_sub_f32_e32 v65, v125, v124
	v_sub_f32_e32 v49, v129, v49
	v_fma_f32 v60, -0.5, v60, v34
	v_add_f32_e32 v49, v65, v49
	v_sub_f32_e32 v64, v40, v51
	v_mov_b32_e32 v65, v60
	v_fmac_f32_e32 v65, 0xbf737871, v64
	v_sub_f32_e32 v66, v127, v62
	v_sub_f32_e32 v67, v48, v126
	;; [unrolled: 1-line block ×3, first 2 shown]
	v_fmac_f32_e32 v60, 0x3f737871, v64
	v_fmac_f32_e32 v65, 0xbf167918, v66
	v_add_f32_e32 v67, v67, v68
	v_fmac_f32_e32 v60, 0x3f167918, v66
	v_fmac_f32_e32 v65, 0x3e9e377a, v67
	;; [unrolled: 1-line block ×3, first 2 shown]
	v_add_f32_e32 v67, v48, v50
	v_fmac_f32_e32 v111, 0x3e9e377a, v49
	v_fmac_f32_e32 v7, 0x3e9e377a, v49
	v_add_f32_e32 v49, v34, v48
	v_fmac_f32_e32 v34, -0.5, v67
	v_mul_f32_e32 v52, v70, v116
	v_mov_b32_e32 v70, v34
	v_fmac_f32_e32 v70, 0x3f737871, v66
	v_fmac_f32_e32 v34, 0xbf737871, v66
	;; [unrolled: 1-line block ×4, first 2 shown]
	v_add_f32_e32 v64, v35, v40
	v_add_f32_e32 v64, v64, v127
	;; [unrolled: 1-line block ×3, first 2 shown]
	s_waitcnt vmcnt(0)
	v_mul_f32_e32 v95, v114, v122
	v_add_f32_e32 v49, v49, v126
	v_add_f32_e32 v112, v64, v51
	;; [unrolled: 1-line block ×3, first 2 shown]
	v_fmac_f32_e32 v95, v113, v121
	v_mul_f32_e32 v38, v113, v122
	v_add_f32_e32 v49, v49, v130
	v_sub_f32_e32 v67, v126, v48
	v_sub_f32_e32 v68, v130, v50
	v_fma_f32 v113, -0.5, v64, v35
	v_add_f32_e32 v49, v49, v50
	v_add_f32_e32 v67, v67, v68
	v_sub_f32_e32 v48, v48, v50
	v_mov_b32_e32 v50, v113
	v_fmac_f32_e32 v70, 0x3e9e377a, v67
	v_fmac_f32_e32 v34, 0x3e9e377a, v67
	v_fmac_f32_e32 v50, 0x3f737871, v48
	v_sub_f32_e32 v64, v126, v130
	v_sub_f32_e32 v66, v40, v127
	v_sub_f32_e32 v67, v51, v62
	v_fmac_f32_e32 v113, 0xbf737871, v48
	v_fmac_f32_e32 v50, 0x3f167918, v64
	v_add_f32_e32 v66, v66, v67
	v_fmac_f32_e32 v113, 0xbf167918, v64
	v_fmac_f32_e32 v50, 0x3e9e377a, v66
	;; [unrolled: 1-line block ×3, first 2 shown]
	v_add_f32_e32 v66, v40, v51
	v_fmac_f32_e32 v35, -0.5, v66
	v_add_f32_e32 v58, v58, v73
	v_mov_b32_e32 v73, v35
	v_sub_f32_e32 v40, v127, v40
	v_sub_f32_e32 v51, v62, v51
	v_fmac_f32_e32 v35, 0x3f737871, v64
	v_fmac_f32_e32 v73, 0xbf737871, v64
	v_add_f32_e32 v40, v40, v51
	v_fmac_f32_e32 v35, 0xbf167918, v48
	v_fmac_f32_e32 v73, 0x3f167918, v48
	;; [unrolled: 1-line block ×3, first 2 shown]
	v_add_f32_e32 v58, v58, v128
	v_fmac_f32_e32 v73, 0x3e9e377a, v40
	v_mul_f32_e32 v51, 0xbf737871, v35
	v_mul_f32_e32 v35, 0xbe9e377a, v35
	v_add_f32_e32 v58, v58, v131
	v_mul_f32_e32 v48, 0xbf737871, v73
	v_mul_f32_e32 v116, 0x3e9e377a, v73
	v_fmac_f32_e32 v35, 0x3f737871, v34
	v_add_f32_e32 v66, v58, v49
	v_fmac_f32_e32 v48, 0x3e9e377a, v70
	v_fmac_f32_e32 v51, 0xbe9e377a, v34
	;; [unrolled: 1-line block ×3, first 2 shown]
	v_add_f32_e32 v75, v7, v35
	v_mul_f32_e32 v34, 0xbf4f1bbd, v113
	v_sub_f32_e32 v70, v58, v49
	v_sub_f32_e32 v49, v7, v35
	v_add_f32_e32 v7, v15, v55
	v_fmac_f32_e32 v52, v69, v115
	v_fma_f32 v38, v114, v121, -v38
	v_mul_f32_e32 v40, 0xbf167918, v50
	v_mul_f32_e32 v114, 0xbf167918, v113
	;; [unrolled: 1-line block ×3, first 2 shown]
	v_fmac_f32_e32 v34, 0x3f167918, v60
	v_fma_f32 v7, -0.5, v7, v4
	v_fmac_f32_e32 v40, 0x3f4f1bbd, v65
	v_add_f32_e32 v72, v71, v48
	v_add_f32_e32 v74, v6, v51
	v_fmac_f32_e32 v114, 0xbf4f1bbd, v60
	v_fmac_f32_e32 v115, 0x3f167918, v65
	v_add_f32_e32 v65, v101, v34
	v_sub_f32_e32 v62, v71, v48
	v_sub_f32_e32 v48, v6, v51
	v_sub_f32_e32 v51, v101, v34
	v_sub_f32_e32 v34, v12, v56
	v_mov_b32_e32 v35, v7
	v_add_f32_e32 v68, v61, v40
	v_add_f32_e32 v64, v59, v114
	v_sub_f32_e32 v60, v61, v40
	v_sub_f32_e32 v50, v59, v114
	v_fmac_f32_e32 v35, 0xbf737871, v34
	v_sub_f32_e32 v40, v45, v54
	v_sub_f32_e32 v58, v13, v15
	;; [unrolled: 1-line block ×3, first 2 shown]
	v_fmac_f32_e32 v7, 0x3f737871, v34
	v_fmac_f32_e32 v35, 0xbf167918, v40
	v_add_f32_e32 v58, v58, v59
	v_fmac_f32_e32 v7, 0x3f167918, v40
	v_fmac_f32_e32 v35, 0x3e9e377a, v58
	;; [unrolled: 1-line block ×3, first 2 shown]
	v_add_f32_e32 v58, v13, v57
	v_add_f32_e32 v6, v4, v13
	v_fma_f32 v4, -0.5, v58, v4
	v_mov_b32_e32 v101, v4
	v_fmac_f32_e32 v101, 0x3f737871, v40
	v_fmac_f32_e32 v4, 0xbf737871, v40
	v_add_f32_e32 v40, v45, v54
	v_add_f32_e32 v69, v102, v115
	v_sub_f32_e32 v61, v102, v115
	v_fma_f32 v102, -0.5, v40, v5
	v_add_f32_e32 v67, v63, v112
	v_add_f32_e32 v73, v111, v116
	v_sub_f32_e32 v71, v63, v112
	v_sub_f32_e32 v63, v111, v116
	v_add_f32_e32 v6, v6, v15
	v_sub_f32_e32 v58, v15, v13
	v_sub_f32_e32 v13, v13, v57
	v_mov_b32_e32 v111, v102
	v_add_f32_e32 v6, v6, v55
	v_sub_f32_e32 v59, v55, v57
	v_fmac_f32_e32 v111, 0x3f737871, v13
	v_sub_f32_e32 v15, v15, v55
	v_sub_f32_e32 v40, v12, v45
	;; [unrolled: 1-line block ×3, first 2 shown]
	v_fmac_f32_e32 v102, 0xbf737871, v13
	v_fmac_f32_e32 v111, 0x3f167918, v15
	v_add_f32_e32 v40, v40, v55
	v_fmac_f32_e32 v102, 0xbf167918, v15
	v_fmac_f32_e32 v111, 0x3e9e377a, v40
	;; [unrolled: 1-line block ×3, first 2 shown]
	v_add_f32_e32 v40, v12, v56
	v_fmac_f32_e32 v101, 0xbf167918, v34
	v_fmac_f32_e32 v4, 0x3f167918, v34
	v_add_f32_e32 v34, v5, v12
	v_fmac_f32_e32 v5, -0.5, v40
	v_mov_b32_e32 v112, v5
	v_fmac_f32_e32 v112, 0xbf737871, v15
	v_fmac_f32_e32 v5, 0x3f737871, v15
	;; [unrolled: 1-line block ×4, first 2 shown]
	v_add_f32_e32 v13, v44, v52
	v_sub_f32_e32 v12, v45, v12
	v_sub_f32_e32 v40, v54, v56
	v_fma_f32 v13, -0.5, v13, v10
	v_add_f32_e32 v34, v34, v45
	v_add_f32_e32 v12, v12, v40
	v_sub_f32_e32 v15, v41, v47
	v_mov_b32_e32 v40, v13
	v_add_f32_e32 v34, v34, v54
	v_fmac_f32_e32 v40, 0xbf737871, v15
	v_sub_f32_e32 v45, v43, v46
	v_sub_f32_e32 v54, v42, v44
	;; [unrolled: 1-line block ×3, first 2 shown]
	v_fmac_f32_e32 v13, 0x3f737871, v15
	v_fmac_f32_e32 v40, 0xbf167918, v45
	v_add_f32_e32 v54, v54, v55
	v_fmac_f32_e32 v13, 0x3f167918, v45
	v_fmac_f32_e32 v40, 0x3e9e377a, v54
	;; [unrolled: 1-line block ×3, first 2 shown]
	v_add_f32_e32 v54, v42, v53
	v_fmac_f32_e32 v112, 0x3e9e377a, v12
	v_fmac_f32_e32 v5, 0x3e9e377a, v12
	v_add_f32_e32 v12, v10, v42
	v_fmac_f32_e32 v10, -0.5, v54
	v_add_f32_e32 v6, v6, v57
	v_mov_b32_e32 v57, v10
	v_fmac_f32_e32 v57, 0x3f737871, v45
	v_fmac_f32_e32 v10, 0xbf737871, v45
	v_add_f32_e32 v45, v43, v46
	v_add_f32_e32 v12, v12, v44
	v_sub_f32_e32 v54, v44, v42
	v_sub_f32_e32 v55, v52, v53
	v_fma_f32 v45, -0.5, v45, v11
	v_add_f32_e32 v12, v12, v52
	v_add_f32_e32 v54, v54, v55
	v_sub_f32_e32 v42, v42, v53
	v_mov_b32_e32 v55, v45
	v_add_f32_e32 v12, v12, v53
	v_fmac_f32_e32 v55, 0x3f737871, v42
	v_sub_f32_e32 v44, v44, v52
	v_sub_f32_e32 v52, v41, v43
	;; [unrolled: 1-line block ×3, first 2 shown]
	v_fmac_f32_e32 v45, 0xbf737871, v42
	v_fmac_f32_e32 v55, 0x3f167918, v44
	v_add_f32_e32 v52, v52, v53
	v_fmac_f32_e32 v45, 0xbf167918, v44
	v_fmac_f32_e32 v55, 0x3e9e377a, v52
	;; [unrolled: 1-line block ×3, first 2 shown]
	v_add_f32_e32 v52, v41, v47
	v_fmac_f32_e32 v57, 0xbf167918, v15
	v_fmac_f32_e32 v10, 0x3f167918, v15
	v_add_f32_e32 v15, v11, v41
	v_fmac_f32_e32 v11, -0.5, v52
	v_add_f32_e32 v58, v58, v59
	v_add_f32_e32 v15, v15, v43
	v_mov_b32_e32 v59, v11
	v_sub_f32_e32 v41, v43, v41
	v_sub_f32_e32 v43, v46, v47
	v_fmac_f32_e32 v11, 0x3f737871, v44
	v_add_f32_e32 v41, v41, v43
	v_fmac_f32_e32 v11, 0xbf167918, v42
	v_fmac_f32_e32 v59, 0xbf737871, v44
	;; [unrolled: 1-line block ×5, first 2 shown]
	v_mul_f32_e32 v43, 0xbf737871, v11
	v_mul_f32_e32 v11, 0xbe9e377a, v11
	v_add_f32_e32 v15, v15, v46
	v_fmac_f32_e32 v59, 0x3e9e377a, v41
	v_fmac_f32_e32 v11, 0x3f737871, v10
	v_add_f32_e32 v15, v15, v47
	v_mul_f32_e32 v42, 0xbf737871, v59
	v_mul_f32_e32 v47, 0xbf167918, v45
	v_mul_f32_e32 v114, 0x3e9e377a, v59
	v_add_f32_e32 v59, v5, v11
	v_sub_f32_e32 v11, v5, v11
	v_add_f32_e32 v5, v99, v98
	v_mul_f32_e32 v41, 0xbf167918, v55
	v_fmac_f32_e32 v47, 0xbf4f1bbd, v13
	v_fma_f32 v5, -0.5, v5, v2
	v_add_f32_e32 v34, v34, v56
	v_add_f32_e32 v52, v6, v12
	v_fmac_f32_e32 v41, 0x3f4f1bbd, v40
	v_add_f32_e32 v44, v7, v47
	v_mul_f32_e32 v113, 0x3f4f1bbd, v55
	v_sub_f32_e32 v46, v6, v12
	v_sub_f32_e32 v12, v7, v47
	;; [unrolled: 1-line block ×3, first 2 shown]
	v_mov_b32_e32 v7, v5
	v_fmac_f32_e32 v57, 0x3e9e377a, v54
	v_add_f32_e32 v54, v35, v41
	v_add_f32_e32 v53, v34, v15
	v_fmac_f32_e32 v113, 0x3f167918, v40
	v_sub_f32_e32 v40, v35, v41
	v_sub_f32_e32 v47, v34, v15
	v_fmac_f32_e32 v7, 0xbf737871, v6
	v_sub_f32_e32 v15, v37, v97
	v_sub_f32_e32 v34, v14, v99
	;; [unrolled: 1-line block ×3, first 2 shown]
	v_fmac_f32_e32 v5, 0x3f737871, v6
	v_fmac_f32_e32 v7, 0xbf167918, v15
	v_add_f32_e32 v34, v34, v35
	v_fmac_f32_e32 v5, 0x3f167918, v15
	v_fmac_f32_e32 v4, 0x3e9e377a, v58
	v_fmac_f32_e32 v43, 0xbe9e377a, v10
	v_fmac_f32_e32 v7, 0x3e9e377a, v34
	v_fmac_f32_e32 v5, 0x3e9e377a, v34
	v_add_f32_e32 v34, v14, v100
	v_fmac_f32_e32 v101, 0x3e9e377a, v58
	v_fmac_f32_e32 v42, 0x3e9e377a, v57
	v_add_f32_e32 v58, v4, v43
	v_sub_f32_e32 v10, v4, v43
	v_add_f32_e32 v4, v2, v14
	v_fma_f32 v2, -0.5, v34, v2
	v_add_f32_e32 v56, v101, v42
	v_sub_f32_e32 v42, v101, v42
	v_mov_b32_e32 v101, v2
	v_fmac_f32_e32 v101, 0x3f737871, v15
	v_fmac_f32_e32 v2, 0xbf737871, v15
	;; [unrolled: 1-line block ×4, first 2 shown]
	v_add_f32_e32 v6, v3, v9
	v_mul_f32_e32 v115, 0xbf4f1bbd, v45
	v_add_f32_e32 v6, v6, v37
	v_fmac_f32_e32 v115, 0x3f167918, v13
	v_add_f32_e32 v6, v6, v97
	v_add_f32_e32 v45, v102, v115
	v_sub_f32_e32 v13, v102, v115
	v_add_f32_e32 v4, v4, v99
	v_add_f32_e32 v102, v6, v96
	;; [unrolled: 1-line block ×4, first 2 shown]
	v_sub_f32_e32 v41, v111, v113
	v_add_f32_e32 v4, v4, v98
	v_sub_f32_e32 v34, v99, v14
	v_sub_f32_e32 v35, v98, v100
	v_fma_f32 v111, -0.5, v6, v3
	v_add_f32_e32 v4, v4, v100
	v_add_f32_e32 v34, v34, v35
	v_sub_f32_e32 v6, v14, v100
	v_mov_b32_e32 v100, v111
	v_fmac_f32_e32 v101, 0x3e9e377a, v34
	v_fmac_f32_e32 v2, 0x3e9e377a, v34
	;; [unrolled: 1-line block ×3, first 2 shown]
	v_sub_f32_e32 v14, v99, v98
	v_sub_f32_e32 v15, v9, v37
	;; [unrolled: 1-line block ×3, first 2 shown]
	v_fmac_f32_e32 v111, 0xbf737871, v6
	v_fmac_f32_e32 v100, 0x3f167918, v14
	v_add_f32_e32 v15, v15, v34
	v_fmac_f32_e32 v111, 0xbf167918, v14
	v_fmac_f32_e32 v100, 0x3e9e377a, v15
	;; [unrolled: 1-line block ×3, first 2 shown]
	v_add_f32_e32 v15, v9, v96
	v_fmac_f32_e32 v3, -0.5, v15
	v_mov_b32_e32 v98, v3
	v_fmac_f32_e32 v98, 0xbf737871, v14
	v_sub_f32_e32 v9, v37, v9
	v_sub_f32_e32 v15, v97, v96
	v_fmac_f32_e32 v3, 0x3f737871, v14
	v_fmac_f32_e32 v98, 0x3f167918, v6
	v_add_f32_e32 v9, v9, v15
	v_fmac_f32_e32 v3, 0xbf167918, v6
	v_fmac_f32_e32 v98, 0x3e9e377a, v9
	;; [unrolled: 1-line block ×3, first 2 shown]
	v_add_f32_e32 v9, v19, v39
	v_fma_f32 v9, -0.5, v9, v0
	v_sub_f32_e32 v14, v16, v38
	v_mov_b32_e32 v15, v9
	v_fmac_f32_e32 v15, 0xbf737871, v14
	v_sub_f32_e32 v34, v18, v36
	v_sub_f32_e32 v35, v17, v19
	;; [unrolled: 1-line block ×3, first 2 shown]
	v_fmac_f32_e32 v9, 0x3f737871, v14
	v_fmac_f32_e32 v15, 0xbf167918, v34
	v_add_f32_e32 v35, v35, v37
	v_fmac_f32_e32 v9, 0x3f167918, v34
	v_fmac_f32_e32 v15, 0x3e9e377a, v35
	;; [unrolled: 1-line block ×3, first 2 shown]
	v_add_f32_e32 v35, v17, v95
	v_add_f32_e32 v6, v0, v17
	v_fmac_f32_e32 v0, -0.5, v35
	v_mov_b32_e32 v37, v0
	v_fmac_f32_e32 v37, 0x3f737871, v34
	v_fmac_f32_e32 v0, 0xbf737871, v34
	;; [unrolled: 1-line block ×4, first 2 shown]
	v_add_f32_e32 v14, v8, v16
	v_add_f32_e32 v14, v14, v18
	v_sub_f32_e32 v35, v19, v17
	v_sub_f32_e32 v96, v39, v95
	v_add_f32_e32 v14, v14, v36
	v_add_f32_e32 v35, v35, v96
	;; [unrolled: 1-line block ×4, first 2 shown]
	v_fma_f32 v97, -0.5, v14, v8
	v_sub_f32_e32 v14, v17, v95
	v_mov_b32_e32 v17, v97
	v_add_f32_e32 v6, v6, v19
	v_fmac_f32_e32 v37, 0x3e9e377a, v35
	v_fmac_f32_e32 v0, 0x3e9e377a, v35
	v_fmac_f32_e32 v17, 0x3f737871, v14
	v_sub_f32_e32 v19, v19, v39
	v_sub_f32_e32 v34, v16, v18
	;; [unrolled: 1-line block ×3, first 2 shown]
	v_fmac_f32_e32 v97, 0xbf737871, v14
	v_fmac_f32_e32 v17, 0x3f167918, v19
	v_add_f32_e32 v34, v34, v35
	v_fmac_f32_e32 v97, 0xbf167918, v19
	v_fmac_f32_e32 v17, 0x3e9e377a, v34
	v_fmac_f32_e32 v97, 0x3e9e377a, v34
	v_add_f32_e32 v34, v16, v38
	v_fmac_f32_e32 v8, -0.5, v34
	v_add_f32_e32 v6, v6, v39
	v_mov_b32_e32 v39, v8
	v_sub_f32_e32 v16, v18, v16
	v_sub_f32_e32 v18, v36, v38
	v_fmac_f32_e32 v8, 0x3f737871, v19
	v_add_f32_e32 v16, v16, v18
	v_fmac_f32_e32 v8, 0xbf167918, v14
	v_fmac_f32_e32 v114, 0x3f737871, v57
	;; [unrolled: 1-line block ×3, first 2 shown]
	v_add_f32_e32 v57, v112, v114
	v_sub_f32_e32 v43, v112, v114
	v_mul_f32_e32 v112, 0xbf737871, v8
	v_mul_f32_e32 v116, 0xbe9e377a, v8
	v_fmac_f32_e32 v39, 0xbf737871, v19
	v_fmac_f32_e32 v112, 0xbe9e377a, v0
	v_mul_f32_e32 v113, 0xbf167918, v97
	v_fmac_f32_e32 v116, 0x3f737871, v0
	v_mul_f32_e32 v0, 0xbf4f1bbd, v97
	v_add_f32_e32 v6, v6, v95
	v_fmac_f32_e32 v39, 0x3f167918, v14
	v_mul_f32_e32 v95, 0xbf167918, v17
	v_fmac_f32_e32 v113, 0xbf4f1bbd, v9
	v_mul_f32_e32 v114, 0x3f4f1bbd, v17
	v_fmac_f32_e32 v0, 0x3f167918, v9
	v_fmac_f32_e32 v39, 0x3e9e377a, v16
	v_add_f32_e32 v18, v4, v6
	v_fmac_f32_e32 v95, 0x3f4f1bbd, v15
	v_add_f32_e32 v14, v5, v113
	v_fmac_f32_e32 v114, 0x3f167918, v15
	v_add_f32_e32 v15, v111, v0
	v_sub_f32_e32 v16, v4, v6
	v_sub_f32_e32 v4, v5, v113
	;; [unrolled: 1-line block ×3, first 2 shown]
	v_mov_b32_e32 v0, 0x1770
	v_add_f32_e32 v34, v7, v95
	v_sub_f32_e32 v6, v7, v95
	v_cndmask_b32_e32 v0, 0, v0, vcc
	v_lshlrev_b32_e32 v95, 3, v110
	v_add3_u32 v0, 0, v0, v95
	s_barrier
	ds_write2_b64 v0, v[66:67], v[68:69] offset1:75
	ds_write2_b64 v0, v[72:73], v[74:75] offset0:150 offset1:225
	v_add_u32_e32 v66, 0x800, v0
	ds_write2_b64 v66, v[64:65], v[70:71] offset0:44 offset1:119
	v_add_u32_e32 v64, 0xc00, v0
	v_add_u32_e32 v0, 0x1000, v0
	ds_write2_b64 v0, v[48:49], v[50:51] offset0:88 offset1:163
	v_mul_u32_u24_e32 v0, 0x1770, v109
	v_lshlrev_b32_sdwa v48, v104, v108 dst_sel:DWORD dst_unused:UNUSED_PAD src0_sel:DWORD src1_sel:BYTE_0
	v_add3_u32 v0, 0, v0, v48
	v_add_u32_e32 v48, 0x800, v0
	ds_write2_b64 v64, v[60:61], v[62:63] offset0:66 offset1:141
	ds_write2_b64 v0, v[52:53], v[54:55] offset1:75
	ds_write2_b64 v0, v[56:57], v[58:59] offset0:150 offset1:225
	ds_write2_b64 v48, v[44:45], v[46:47] offset0:44 offset1:119
	v_add_u32_e32 v44, 0xc00, v0
	v_add_u32_e32 v0, 0x1000, v0
	ds_write2_b64 v0, v[10:11], v[12:13] offset0:88 offset1:163
	v_mul_u32_u24_e32 v0, 0x1770, v106
	v_lshlrev_b32_e32 v10, 3, v107
	v_mul_f32_e32 v99, 0xbf737871, v39
	v_mul_f32_e32 v115, 0x3e9e377a, v39
	v_add3_u32 v0, 0, v0, v10
	v_fmac_f32_e32 v99, 0x3e9e377a, v37
	v_add_f32_e32 v19, v102, v96
	v_add_f32_e32 v35, v100, v114
	v_fmac_f32_e32 v115, 0x3f737871, v37
	v_sub_f32_e32 v17, v102, v96
	v_add_u32_e32 v10, 0x800, v0
	v_add_f32_e32 v36, v101, v99
	v_add_f32_e32 v38, v2, v112
	;; [unrolled: 1-line block ×4, first 2 shown]
	v_sub_f32_e32 v2, v2, v112
	v_sub_f32_e32 v3, v3, v116
	ds_write2_b64 v44, v[40:41], v[42:43] offset0:66 offset1:141
	ds_write2_b64 v0, v[18:19], v[34:35] offset1:75
	ds_write2_b64 v0, v[36:37], v[38:39] offset0:150 offset1:225
	ds_write2_b64 v10, v[14:15], v[16:17] offset0:44 offset1:119
	v_add_u32_e32 v10, 0xc00, v0
	v_add_u32_e32 v0, 0x1000, v0
	ds_write2_b64 v0, v[2:3], v[4:5] offset0:88 offset1:163
	v_lshlrev_b32_e32 v0, 2, v20
	v_lshlrev_b64 v[12:13], 3, v[0:1]
	v_lshlrev_b32_e32 v0, 2, v24
	v_lshlrev_b64 v[2:3], 3, v[0:1]
	v_sub_f32_e32 v8, v101, v99
	v_add_co_u32_e32 v14, vcc, s8, v2
	v_addc_co_u32_e32 v15, vcc, v105, v3, vcc
	v_add_co_u32_e32 v2, vcc, s4, v14
	v_sub_f32_e32 v7, v100, v114
	v_sub_f32_e32 v9, v98, v115
	v_addc_co_u32_e32 v3, vcc, 0, v15, vcc
	v_lshlrev_b32_e32 v0, 2, v33
	ds_write2_b64 v10, v[6:7], v[8:9] offset0:66 offset1:141
	s_waitcnt lgkmcnt(0)
	s_barrier
	global_load_dwordx4 v[6:9], v[2:3], off offset:1880
	v_lshlrev_b64 v[2:3], 3, v[0:1]
	v_add_co_u32_e32 v0, vcc, s8, v2
	v_addc_co_u32_e32 v16, vcc, v105, v3, vcc
	v_add_co_u32_e32 v2, vcc, s4, v0
	v_addc_co_u32_e32 v3, vcc, 0, v16, vcc
	global_load_dwordx4 v[34:37], v[2:3], off offset:1880
	v_add_co_u32_e32 v17, vcc, s8, v12
	v_addc_co_u32_e32 v18, vcc, v105, v13, vcc
	v_add_co_u32_e32 v12, vcc, s5, v14
	v_addc_co_u32_e32 v13, vcc, 0, v15, vcc
	ds_read_b64 v[10:11], v76
	ds_read2_b64 v[38:41], v86 offset0:95 offset1:220
	ds_read2_b64 v[42:45], v88 offset0:77 offset1:202
	;; [unrolled: 1-line block ×7, first 2 shown]
	ds_read_b64 v[4:5], v80
	ds_read_b64 v[2:3], v82
	ds_read2_b64 v[66:69], v92 offset0:101 offset1:226
	ds_read2_b64 v[70:73], v93 offset0:83 offset1:208
	global_load_dwordx4 v[86:89], v[12:13], off offset:16
	v_add_co_u32_e32 v12, vcc, s5, v17
	v_addc_co_u32_e32 v13, vcc, 0, v18, vcc
	v_add_co_u32_e32 v14, vcc, s5, v0
	v_addc_co_u32_e32 v15, vcc, 0, v16, vcc
	global_load_dwordx4 v[90:93], v[14:15], off offset:16
	v_add_co_u32_e32 v14, vcc, s4, v17
	v_addc_co_u32_e32 v15, vcc, 0, v18, vcc
	global_load_dwordx4 v[94:97], v[14:15], off offset:1880
	global_load_dwordx4 v[98:101], v[12:13], off offset:16
	ds_read2_b64 v[122:125], v84 offset0:65 offset1:190
	s_waitcnt vmcnt(5) lgkmcnt(8)
	v_mul_f32_e32 v0, v50, v7
	v_fma_f32 v15, v51, v6, -v0
	s_waitcnt lgkmcnt(7)
	v_mul_f32_e32 v0, v54, v9
	v_fma_f32 v16, v55, v8, -v0
	v_mul_f32_e32 v17, v51, v7
	v_fmac_f32_e32 v17, v50, v6
	v_mul_f32_e32 v18, v55, v9
	v_fmac_f32_e32 v18, v54, v8
	s_waitcnt vmcnt(4)
	v_mul_f32_e32 v0, v52, v35
	v_fma_f32 v12, v53, v34, -v0
	v_lshlrev_b32_e32 v0, 2, v32
	v_lshlrev_b64 v[6:7], 3, v[0:1]
	v_mul_f32_e32 v13, v53, v35
	v_add_co_u32_e32 v0, vcc, s8, v6
	v_addc_co_u32_e32 v8, vcc, v105, v7, vcc
	v_add_co_u32_e32 v6, vcc, s4, v0
	v_addc_co_u32_e32 v7, vcc, 0, v8, vcc
	v_fmac_f32_e32 v13, v52, v34
	global_load_dwordx4 v[50:53], v[6:7], off offset:1880
	v_add_co_u32_e32 v6, vcc, s5, v0
	v_addc_co_u32_e32 v7, vcc, 0, v8, vcc
	v_lshlrev_b32_e32 v0, 2, v27
	global_load_dwordx4 v[106:109], v[6:7], off offset:16
	v_lshlrev_b64 v[6:7], 3, v[0:1]
	v_mul_f32_e32 v14, v57, v37
	v_add_co_u32_e32 v0, vcc, s8, v6
	v_addc_co_u32_e32 v8, vcc, v105, v7, vcc
	v_add_co_u32_e32 v6, vcc, s4, v0
	v_addc_co_u32_e32 v7, vcc, 0, v8, vcc
	global_load_dwordx4 v[110:113], v[6:7], off offset:1880
	v_add_co_u32_e32 v6, vcc, s5, v0
	v_addc_co_u32_e32 v7, vcc, 0, v8, vcc
	v_lshlrev_b32_e32 v0, 2, v29
	global_load_dwordx4 v[114:117], v[6:7], off offset:16
	v_lshlrev_b64 v[6:7], 3, v[0:1]
	v_fmac_f32_e32 v14, v56, v36
	v_add_co_u32_e32 v0, vcc, s8, v6
	v_addc_co_u32_e32 v8, vcc, v105, v7, vcc
	v_add_co_u32_e32 v6, vcc, s4, v0
	v_addc_co_u32_e32 v7, vcc, 0, v8, vcc
	global_load_dwordx4 v[118:121], v[6:7], off offset:1880
	v_mul_f32_e32 v6, v56, v37
	v_fma_f32 v19, v57, v36, -v6
	v_add_co_u32_e32 v6, vcc, s5, v0
	v_addc_co_u32_e32 v7, vcc, 0, v8, vcc
	global_load_dwordx4 v[34:37], v[6:7], off offset:16
	s_waitcnt vmcnt(9) lgkmcnt(6)
	v_mul_f32_e32 v6, v58, v87
	v_mul_f32_e32 v0, v59, v87
	v_fma_f32 v84, v59, v86, -v6
	s_waitcnt lgkmcnt(5)
	v_mul_f32_e32 v6, v62, v89
	v_fmac_f32_e32 v0, v58, v86
	v_mul_f32_e32 v86, v63, v89
	v_fma_f32 v87, v63, v88, -v6
	ds_read2_b64 v[56:59], v85 offset0:47 offset1:172
	s_waitcnt vmcnt(8)
	v_mul_f32_e32 v85, v61, v91
	v_mul_f32_e32 v6, v60, v91
	v_fmac_f32_e32 v86, v62, v88
	v_fmac_f32_e32 v85, v60, v90
	v_fma_f32 v88, v61, v90, -v6
	ds_read_b64 v[6:7], v30
	ds_read_b64 v[60:61], v83
	v_mul_f32_e32 v89, v65, v93
	v_fmac_f32_e32 v89, v64, v92
	v_mul_f32_e32 v8, v64, v93
	v_fma_f32 v83, v65, v92, -v8
	s_waitcnt vmcnt(7) lgkmcnt(0)
	v_mul_f32_e32 v64, v95, v61
	v_fmac_f32_e32 v64, v94, v60
	v_mul_f32_e32 v60, v95, v60
	v_fma_f32 v60, v94, v61, -v60
	v_mul_f32_e32 v61, v97, v41
	v_fmac_f32_e32 v61, v96, v40
	v_mul_f32_e32 v40, v97, v40
	v_fma_f32 v40, v96, v41, -v40
	s_waitcnt vmcnt(6)
	v_mul_f32_e32 v41, v99, v45
	v_fmac_f32_e32 v41, v98, v44
	v_mul_f32_e32 v44, v99, v44
	v_fma_f32 v44, v98, v45, -v44
	v_mul_f32_e32 v45, v49, v101
	v_fmac_f32_e32 v45, v48, v100
	v_mul_f32_e32 v48, v48, v101
	ds_read_b64 v[8:9], v79
	ds_read_b64 v[54:55], v81
	ds_read_b64 v[62:63], v76 offset:29000
	v_fma_f32 v48, v49, v100, -v48
	s_waitcnt vmcnt(0) lgkmcnt(0)
	s_barrier
	v_mul_f32_e32 v49, v67, v51
	v_mul_f32_e32 v51, v66, v51
	v_fmac_f32_e32 v49, v66, v50
	v_fma_f32 v50, v67, v50, -v51
	v_mul_f32_e32 v51, v71, v53
	v_mul_f32_e32 v53, v70, v53
	v_fmac_f32_e32 v51, v70, v52
	v_fma_f32 v90, v71, v52, -v53
	v_mul_f32_e32 v52, v122, v107
	v_fma_f32 v92, v123, v106, -v52
	v_mul_f32_e32 v93, v57, v109
	v_mul_f32_e32 v52, v56, v109
	v_fmac_f32_e32 v93, v56, v108
	v_fma_f32 v94, v57, v108, -v52
	v_mul_f32_e32 v91, v123, v107
	v_fmac_f32_e32 v91, v122, v106
	v_mul_f32_e32 v95, v69, v111
	v_mul_f32_e32 v52, v68, v111
	v_fmac_f32_e32 v95, v68, v110
	v_fma_f32 v96, v69, v110, -v52
	v_mul_f32_e32 v97, v73, v113
	v_fmac_f32_e32 v97, v72, v112
	v_mul_f32_e32 v52, v72, v113
	v_fma_f32 v98, v73, v112, -v52
	v_mul_f32_e32 v52, v124, v115
	v_fma_f32 v100, v125, v114, -v52
	;; [unrolled: 2-line block ×3, first 2 shown]
	v_mul_f32_e32 v101, v59, v117
	v_fmac_f32_e32 v101, v58, v116
	v_mul_f32_e32 v99, v125, v115
	v_fmac_f32_e32 v99, v124, v114
	v_cmp_ne_u32_e32 vcc, 0, v20
	v_mul_f32_e32 v104, v39, v119
	v_fmac_f32_e32 v104, v38, v118
	v_mul_f32_e32 v38, v38, v119
	v_fma_f32 v105, v39, v118, -v38
	v_mul_f32_e32 v38, v42, v121
	v_fma_f32 v107, v43, v120, -v38
	v_sub_f32_e32 v38, v45, v41
	v_mul_f32_e32 v108, v47, v35
	v_mul_f32_e32 v35, v46, v35
	v_fmac_f32_e32 v108, v46, v34
	v_fma_f32 v109, v47, v34, -v35
	v_mul_f32_e32 v34, v62, v37
	v_fma_f32 v110, v63, v36, -v34
	v_add_f32_e32 v34, v10, v64
	v_add_f32_e32 v34, v34, v61
	;; [unrolled: 1-line block ×3, first 2 shown]
	v_mul_f32_e32 v35, v63, v37
	v_add_f32_e32 v74, v34, v45
	v_add_f32_e32 v34, v61, v41
	v_fmac_f32_e32 v35, v62, v36
	v_fma_f32 v62, -0.5, v34, v10
	v_sub_f32_e32 v34, v60, v48
	v_mov_b32_e32 v70, v62
	v_fmac_f32_e32 v70, 0xbf737871, v34
	v_sub_f32_e32 v36, v40, v44
	v_sub_f32_e32 v37, v64, v61
	v_fmac_f32_e32 v62, 0x3f737871, v34
	v_fmac_f32_e32 v70, 0xbf167918, v36
	v_add_f32_e32 v37, v37, v38
	v_fmac_f32_e32 v62, 0x3f167918, v36
	v_fmac_f32_e32 v70, 0x3e9e377a, v37
	;; [unrolled: 1-line block ×3, first 2 shown]
	v_add_f32_e32 v37, v64, v45
	v_fma_f32 v10, -0.5, v37, v10
	v_mov_b32_e32 v66, v10
	v_fmac_f32_e32 v66, 0x3f737871, v36
	v_fmac_f32_e32 v10, 0xbf737871, v36
	;; [unrolled: 1-line block ×4, first 2 shown]
	v_add_f32_e32 v34, v11, v60
	v_add_f32_e32 v34, v34, v40
	;; [unrolled: 1-line block ×5, first 2 shown]
	v_sub_f32_e32 v37, v61, v64
	v_sub_f32_e32 v38, v41, v45
	v_fma_f32 v63, -0.5, v34, v11
	v_add_f32_e32 v37, v37, v38
	v_sub_f32_e32 v34, v64, v45
	v_mov_b32_e32 v71, v63
	v_fmac_f32_e32 v66, 0x3e9e377a, v37
	v_fmac_f32_e32 v10, 0x3e9e377a, v37
	;; [unrolled: 1-line block ×3, first 2 shown]
	v_sub_f32_e32 v36, v61, v41
	v_sub_f32_e32 v37, v60, v40
	;; [unrolled: 1-line block ×3, first 2 shown]
	v_fmac_f32_e32 v63, 0xbf737871, v34
	v_fmac_f32_e32 v71, 0x3f167918, v36
	v_add_f32_e32 v37, v37, v38
	v_fmac_f32_e32 v63, 0xbf167918, v36
	v_fmac_f32_e32 v71, 0x3e9e377a, v37
	;; [unrolled: 1-line block ×3, first 2 shown]
	v_add_f32_e32 v37, v60, v48
	v_fmac_f32_e32 v11, -0.5, v37
	v_mov_b32_e32 v67, v11
	v_fmac_f32_e32 v67, 0xbf737871, v36
	v_fmac_f32_e32 v11, 0x3f737871, v36
	;; [unrolled: 1-line block ×4, first 2 shown]
	v_add_f32_e32 v34, v54, v17
	v_add_f32_e32 v34, v34, v18
	;; [unrolled: 1-line block ×3, first 2 shown]
	v_mul_f32_e32 v106, v43, v121
	v_add_f32_e32 v72, v34, v86
	v_add_f32_e32 v34, v18, v0
	v_fmac_f32_e32 v106, v42, v120
	v_sub_f32_e32 v37, v40, v60
	v_sub_f32_e32 v38, v44, v48
	v_fma_f32 v42, -0.5, v34, v54
	v_add_f32_e32 v37, v37, v38
	v_sub_f32_e32 v34, v15, v87
	v_mov_b32_e32 v68, v42
	v_fmac_f32_e32 v67, 0x3e9e377a, v37
	v_fmac_f32_e32 v11, 0x3e9e377a, v37
	;; [unrolled: 1-line block ×3, first 2 shown]
	v_sub_f32_e32 v36, v16, v84
	v_sub_f32_e32 v37, v17, v18
	;; [unrolled: 1-line block ×3, first 2 shown]
	v_fmac_f32_e32 v42, 0x3f737871, v34
	v_fmac_f32_e32 v68, 0xbf167918, v36
	v_add_f32_e32 v37, v37, v38
	v_fmac_f32_e32 v42, 0x3f167918, v36
	v_fmac_f32_e32 v68, 0x3e9e377a, v37
	;; [unrolled: 1-line block ×3, first 2 shown]
	v_add_f32_e32 v37, v17, v86
	v_fma_f32 v54, -0.5, v37, v54
	v_mov_b32_e32 v64, v54
	v_fmac_f32_e32 v64, 0x3f737871, v36
	v_fmac_f32_e32 v54, 0xbf737871, v36
	;; [unrolled: 1-line block ×4, first 2 shown]
	v_add_f32_e32 v34, v55, v15
	v_add_f32_e32 v34, v34, v16
	;; [unrolled: 1-line block ×5, first 2 shown]
	v_fma_f32 v43, -0.5, v34, v55
	v_sub_f32_e32 v37, v18, v17
	v_sub_f32_e32 v17, v17, v86
	v_mov_b32_e32 v69, v43
	v_sub_f32_e32 v38, v0, v86
	v_fmac_f32_e32 v69, 0x3f737871, v17
	v_sub_f32_e32 v0, v18, v0
	v_sub_f32_e32 v18, v15, v16
	;; [unrolled: 1-line block ×3, first 2 shown]
	v_fmac_f32_e32 v43, 0xbf737871, v17
	v_fmac_f32_e32 v69, 0x3f167918, v0
	v_add_f32_e32 v18, v18, v34
	v_fmac_f32_e32 v43, 0xbf167918, v0
	v_fmac_f32_e32 v69, 0x3e9e377a, v18
	;; [unrolled: 1-line block ×3, first 2 shown]
	v_add_f32_e32 v18, v15, v87
	v_fmac_f32_e32 v55, -0.5, v18
	v_mov_b32_e32 v65, v55
	v_fmac_f32_e32 v65, 0xbf737871, v0
	v_fmac_f32_e32 v55, 0x3f737871, v0
	v_add_f32_e32 v0, v4, v13
	v_add_f32_e32 v0, v0, v14
	;; [unrolled: 1-line block ×5, first 2 shown]
	v_sub_f32_e32 v15, v16, v15
	v_sub_f32_e32 v16, v84, v87
	v_fma_f32 v36, -0.5, v0, v4
	v_fmac_f32_e32 v65, 0x3f167918, v17
	v_add_f32_e32 v15, v15, v16
	v_fmac_f32_e32 v55, 0xbf167918, v17
	v_sub_f32_e32 v0, v12, v83
	v_mov_b32_e32 v56, v36
	v_fmac_f32_e32 v65, 0x3e9e377a, v15
	v_fmac_f32_e32 v55, 0x3e9e377a, v15
	;; [unrolled: 1-line block ×3, first 2 shown]
	v_sub_f32_e32 v15, v19, v88
	v_sub_f32_e32 v16, v13, v14
	;; [unrolled: 1-line block ×3, first 2 shown]
	v_fmac_f32_e32 v36, 0x3f737871, v0
	v_fmac_f32_e32 v56, 0xbf167918, v15
	v_add_f32_e32 v16, v16, v17
	v_fmac_f32_e32 v36, 0x3f167918, v15
	v_fmac_f32_e32 v56, 0x3e9e377a, v16
	;; [unrolled: 1-line block ×3, first 2 shown]
	v_add_f32_e32 v16, v13, v89
	v_fma_f32 v4, -0.5, v16, v4
	v_mov_b32_e32 v52, v4
	v_fmac_f32_e32 v52, 0x3f737871, v15
	v_fmac_f32_e32 v4, 0xbf737871, v15
	;; [unrolled: 1-line block ×4, first 2 shown]
	v_add_f32_e32 v0, v5, v12
	v_add_f32_e32 v0, v0, v19
	;; [unrolled: 1-line block ×6, first 2 shown]
	v_fmac_f32_e32 v64, 0x3e9e377a, v37
	v_fmac_f32_e32 v54, 0x3e9e377a, v37
	v_fma_f32 v37, -0.5, v0, v5
	v_sub_f32_e32 v0, v13, v89
	v_mov_b32_e32 v57, v37
	v_sub_f32_e32 v16, v14, v13
	v_fmac_f32_e32 v57, 0x3f737871, v0
	v_sub_f32_e32 v13, v14, v85
	v_sub_f32_e32 v14, v12, v19
	;; [unrolled: 1-line block ×3, first 2 shown]
	v_fmac_f32_e32 v37, 0xbf737871, v0
	v_fmac_f32_e32 v57, 0x3f167918, v13
	v_add_f32_e32 v14, v14, v15
	v_fmac_f32_e32 v37, 0xbf167918, v13
	v_fmac_f32_e32 v57, 0x3e9e377a, v14
	;; [unrolled: 1-line block ×3, first 2 shown]
	v_add_f32_e32 v14, v12, v83
	v_fmac_f32_e32 v5, -0.5, v14
	v_mov_b32_e32 v53, v5
	v_fmac_f32_e32 v53, 0xbf737871, v13
	v_fmac_f32_e32 v5, 0x3f737871, v13
	;; [unrolled: 1-line block ×4, first 2 shown]
	v_add_f32_e32 v0, v2, v49
	v_add_f32_e32 v0, v0, v51
	v_sub_f32_e32 v17, v85, v89
	v_add_f32_e32 v0, v0, v91
	v_add_f32_e32 v16, v16, v17
	;; [unrolled: 1-line block ×4, first 2 shown]
	v_fmac_f32_e32 v52, 0x3e9e377a, v16
	v_fmac_f32_e32 v4, 0x3e9e377a, v16
	v_sub_f32_e32 v12, v19, v12
	v_sub_f32_e32 v14, v88, v83
	v_fma_f32 v16, -0.5, v0, v2
	v_add_f32_e32 v12, v12, v14
	v_sub_f32_e32 v0, v50, v94
	v_mov_b32_e32 v48, v16
	v_fmac_f32_e32 v53, 0x3e9e377a, v12
	v_fmac_f32_e32 v5, 0x3e9e377a, v12
	;; [unrolled: 1-line block ×3, first 2 shown]
	v_sub_f32_e32 v12, v90, v92
	v_sub_f32_e32 v13, v49, v51
	;; [unrolled: 1-line block ×3, first 2 shown]
	v_fmac_f32_e32 v16, 0x3f737871, v0
	v_fmac_f32_e32 v48, 0xbf167918, v12
	v_add_f32_e32 v13, v13, v14
	v_fmac_f32_e32 v16, 0x3f167918, v12
	v_fmac_f32_e32 v48, 0x3e9e377a, v13
	;; [unrolled: 1-line block ×3, first 2 shown]
	v_add_f32_e32 v13, v49, v93
	v_fma_f32 v2, -0.5, v13, v2
	v_mov_b32_e32 v46, v2
	v_fmac_f32_e32 v46, 0x3f737871, v12
	v_fmac_f32_e32 v2, 0xbf737871, v12
	;; [unrolled: 1-line block ×4, first 2 shown]
	v_add_f32_e32 v0, v3, v50
	v_add_f32_e32 v0, v0, v90
	;; [unrolled: 1-line block ×5, first 2 shown]
	v_sub_f32_e32 v13, v51, v49
	v_sub_f32_e32 v14, v91, v93
	v_fma_f32 v17, -0.5, v0, v3
	v_add_f32_e32 v13, v13, v14
	v_sub_f32_e32 v0, v49, v93
	v_mov_b32_e32 v49, v17
	v_fmac_f32_e32 v46, 0x3e9e377a, v13
	v_fmac_f32_e32 v2, 0x3e9e377a, v13
	;; [unrolled: 1-line block ×3, first 2 shown]
	v_sub_f32_e32 v12, v51, v91
	v_sub_f32_e32 v13, v50, v90
	;; [unrolled: 1-line block ×3, first 2 shown]
	v_fmac_f32_e32 v17, 0xbf737871, v0
	v_fmac_f32_e32 v49, 0x3f167918, v12
	v_add_f32_e32 v13, v13, v14
	v_fmac_f32_e32 v17, 0xbf167918, v12
	v_fmac_f32_e32 v49, 0x3e9e377a, v13
	;; [unrolled: 1-line block ×3, first 2 shown]
	v_add_f32_e32 v13, v50, v94
	v_fmac_f32_e32 v3, -0.5, v13
	v_mov_b32_e32 v47, v3
	v_fmac_f32_e32 v47, 0xbf737871, v12
	v_fmac_f32_e32 v3, 0x3f737871, v12
	;; [unrolled: 1-line block ×4, first 2 shown]
	v_add_f32_e32 v0, v8, v95
	v_add_f32_e32 v0, v0, v97
	;; [unrolled: 1-line block ×3, first 2 shown]
	v_sub_f32_e32 v13, v90, v50
	v_sub_f32_e32 v14, v92, v94
	v_add_f32_e32 v50, v0, v101
	v_add_f32_e32 v0, v97, v99
	;; [unrolled: 1-line block ×3, first 2 shown]
	v_fma_f32 v14, -0.5, v0, v8
	v_sub_f32_e32 v0, v96, v102
	v_mov_b32_e32 v40, v14
	v_fmac_f32_e32 v47, 0x3e9e377a, v13
	v_fmac_f32_e32 v3, 0x3e9e377a, v13
	;; [unrolled: 1-line block ×3, first 2 shown]
	v_sub_f32_e32 v12, v98, v100
	v_sub_f32_e32 v13, v95, v97
	;; [unrolled: 1-line block ×3, first 2 shown]
	v_fmac_f32_e32 v14, 0x3f737871, v0
	v_fmac_f32_e32 v40, 0xbf167918, v12
	v_add_f32_e32 v13, v13, v15
	v_fmac_f32_e32 v14, 0x3f167918, v12
	v_fmac_f32_e32 v40, 0x3e9e377a, v13
	;; [unrolled: 1-line block ×3, first 2 shown]
	v_add_f32_e32 v13, v95, v101
	v_fma_f32 v8, -0.5, v13, v8
	v_mov_b32_e32 v38, v8
	v_fmac_f32_e32 v38, 0x3f737871, v12
	v_fmac_f32_e32 v8, 0xbf737871, v12
	v_fmac_f32_e32 v38, 0xbf167918, v0
	v_fmac_f32_e32 v8, 0x3f167918, v0
	v_add_f32_e32 v0, v9, v96
	v_add_f32_e32 v0, v0, v98
	;; [unrolled: 1-line block ×3, first 2 shown]
	v_sub_f32_e32 v13, v97, v95
	v_sub_f32_e32 v15, v99, v101
	v_add_f32_e32 v51, v0, v102
	v_add_f32_e32 v0, v98, v100
	;; [unrolled: 1-line block ×3, first 2 shown]
	v_fma_f32 v15, -0.5, v0, v9
	v_sub_f32_e32 v0, v95, v101
	v_mov_b32_e32 v41, v15
	v_fmac_f32_e32 v38, 0x3e9e377a, v13
	v_fmac_f32_e32 v8, 0x3e9e377a, v13
	;; [unrolled: 1-line block ×3, first 2 shown]
	v_sub_f32_e32 v12, v97, v99
	v_sub_f32_e32 v13, v96, v98
	;; [unrolled: 1-line block ×3, first 2 shown]
	v_fmac_f32_e32 v15, 0xbf737871, v0
	v_fmac_f32_e32 v41, 0x3f167918, v12
	v_add_f32_e32 v13, v13, v18
	v_fmac_f32_e32 v15, 0xbf167918, v12
	v_fmac_f32_e32 v41, 0x3e9e377a, v13
	;; [unrolled: 1-line block ×3, first 2 shown]
	v_add_f32_e32 v13, v96, v102
	v_fmac_f32_e32 v9, -0.5, v13
	v_mov_b32_e32 v39, v9
	v_fmac_f32_e32 v39, 0xbf737871, v12
	v_fmac_f32_e32 v9, 0x3f737871, v12
	;; [unrolled: 1-line block ×4, first 2 shown]
	v_add_f32_e32 v0, v6, v104
	v_add_f32_e32 v0, v0, v106
	;; [unrolled: 1-line block ×5, first 2 shown]
	v_sub_f32_e32 v13, v98, v96
	v_sub_f32_e32 v18, v100, v102
	v_fma_f32 v12, -0.5, v0, v6
	v_add_f32_e32 v13, v13, v18
	v_sub_f32_e32 v0, v105, v110
	v_mov_b32_e32 v34, v12
	v_fmac_f32_e32 v39, 0x3e9e377a, v13
	v_fmac_f32_e32 v9, 0x3e9e377a, v13
	;; [unrolled: 1-line block ×3, first 2 shown]
	v_sub_f32_e32 v13, v107, v109
	v_sub_f32_e32 v18, v104, v106
	;; [unrolled: 1-line block ×3, first 2 shown]
	v_fmac_f32_e32 v12, 0x3f737871, v0
	v_fmac_f32_e32 v34, 0xbf167918, v13
	v_add_f32_e32 v18, v18, v19
	v_fmac_f32_e32 v12, 0x3f167918, v13
	v_fmac_f32_e32 v34, 0x3e9e377a, v18
	;; [unrolled: 1-line block ×3, first 2 shown]
	v_add_f32_e32 v18, v104, v35
	v_fma_f32 v6, -0.5, v18, v6
	v_mov_b32_e32 v18, v6
	v_fmac_f32_e32 v18, 0x3f737871, v13
	v_fmac_f32_e32 v6, 0xbf737871, v13
	;; [unrolled: 1-line block ×4, first 2 shown]
	v_add_f32_e32 v0, v7, v105
	v_add_f32_e32 v0, v0, v107
	v_sub_f32_e32 v19, v106, v104
	v_sub_f32_e32 v45, v108, v35
	v_add_f32_e32 v0, v0, v109
	v_add_f32_e32 v19, v19, v45
	;; [unrolled: 1-line block ×4, first 2 shown]
	v_fma_f32 v13, -0.5, v0, v7
	v_sub_f32_e32 v0, v104, v35
	v_mov_b32_e32 v35, v13
	v_fmac_f32_e32 v18, 0x3e9e377a, v19
	v_fmac_f32_e32 v6, 0x3e9e377a, v19
	;; [unrolled: 1-line block ×3, first 2 shown]
	v_sub_f32_e32 v83, v106, v108
	v_sub_f32_e32 v19, v105, v107
	;; [unrolled: 1-line block ×3, first 2 shown]
	v_fmac_f32_e32 v13, 0xbf737871, v0
	v_fmac_f32_e32 v35, 0x3f167918, v83
	v_add_f32_e32 v19, v19, v84
	v_fmac_f32_e32 v13, 0xbf167918, v83
	v_fmac_f32_e32 v35, 0x3e9e377a, v19
	;; [unrolled: 1-line block ×3, first 2 shown]
	v_add_f32_e32 v19, v105, v110
	v_fmac_f32_e32 v7, -0.5, v19
	v_mov_b32_e32 v19, v7
	v_fmac_f32_e32 v19, 0xbf737871, v83
	v_sub_f32_e32 v84, v107, v105
	v_sub_f32_e32 v85, v109, v110
	v_fmac_f32_e32 v7, 0x3f737871, v83
	v_fmac_f32_e32 v19, 0x3f167918, v0
	v_add_f32_e32 v84, v84, v85
	v_fmac_f32_e32 v7, 0xbf167918, v0
	v_fmac_f32_e32 v19, 0x3e9e377a, v84
	;; [unrolled: 1-line block ×3, first 2 shown]
	ds_write_b64 v76, v[74:75]
	ds_write_b64 v76, v[70:71] offset:6000
	ds_write_b64 v76, v[66:67] offset:12000
	ds_write_b64 v76, v[10:11] offset:18000
	ds_write_b64 v76, v[62:63] offset:24000
	ds_write_b64 v81, v[72:73]
	ds_write_b64 v81, v[68:69] offset:6000
	ds_write_b64 v81, v[64:65] offset:12000
	ds_write_b64 v81, v[54:55] offset:18000
	ds_write_b64 v81, v[42:43] offset:24000
	;; [unrolled: 5-line block ×6, first 2 shown]
	s_waitcnt lgkmcnt(0)
	s_barrier
	ds_read_b64 v[3:4], v76
	v_sub_u32_e32 v0, 0, v21
                                        ; implicit-def: $vgpr2
                                        ; implicit-def: $vgpr7
	s_and_saveexec_b64 s[4:5], vcc
	s_xor_b64 s[4:5], exec, s[4:5]
	s_cbranch_execz .LBB0_15
; %bb.14:
	v_mov_b32_e32 v21, v1
	v_lshlrev_b64 v[1:2], 3, v[20:21]
	v_mov_b32_e32 v5, s7
	v_add_co_u32_e32 v1, vcc, s6, v1
	v_addc_co_u32_e32 v2, vcc, v5, v2, vcc
	global_load_dwordx2 v[5:6], v[1:2], off
	ds_read_b64 v[1:2], v0 offset:30000
	s_waitcnt lgkmcnt(0)
	v_add_f32_e32 v8, v1, v3
	v_sub_f32_e32 v1, v3, v1
	v_add_f32_e32 v7, v2, v4
	v_sub_f32_e32 v2, v4, v2
	v_mul_f32_e32 v4, 0.5, v1
	v_mul_f32_e32 v1, 0.5, v2
	v_mul_f32_e32 v3, 0.5, v7
	s_waitcnt vmcnt(0)
	v_mul_f32_e32 v2, v6, v4
	v_fma_f32 v9, 0.5, v8, v2
	v_fma_f32 v7, v3, v6, v1
	v_fma_f32 v6, v3, v6, -v1
	v_fma_f32 v1, v8, 0.5, -v2
	v_fmac_f32_e32 v9, v5, v3
	v_fma_f32 v7, -v5, v4, v7
	v_fma_f32 v1, -v5, v3, v1
	ds_write_b32 v76, v9
	v_fma_f32 v2, -v5, v4, v6
                                        ; implicit-def: $vgpr3_vgpr4
.LBB0_15:
	s_or_saveexec_b64 s[4:5], s[4:5]
	v_sub_u32_e32 v5, 0, v25
	v_sub_u32_e32 v6, 0, v28
	s_xor_b64 exec, exec, s[4:5]
	s_cbranch_execz .LBB0_17
; %bb.16:
	v_mov_b32_e32 v7, 0
	ds_read_b32 v2, v7 offset:15004
	s_waitcnt lgkmcnt(1)
	v_add_f32_e32 v8, v3, v4
	v_sub_f32_e32 v1, v3, v4
	ds_write_b32 v76, v8
	s_waitcnt lgkmcnt(1)
	v_xor_b32_e32 v2, 0x80000000, v2
	ds_write_b32 v7, v2 offset:15004
	v_mov_b32_e32 v2, v7
.LBB0_17:
	s_or_b64 exec, exec, s[4:5]
	v_mov_b32_e32 v25, 0
	s_waitcnt lgkmcnt(0)
	v_lshlrev_b64 v[3:4], 3, v[24:25]
	v_mov_b32_e32 v8, s7
	v_add_co_u32_e32 v3, vcc, s6, v3
	v_addc_co_u32_e32 v4, vcc, v8, v4, vcc
	global_load_dwordx2 v[3:4], v[3:4], off
	v_mov_b32_e32 v34, v25
	v_lshlrev_b64 v[8:9], 3, v[33:34]
	v_mov_b32_e32 v10, s7
	v_add_co_u32_e32 v8, vcc, s6, v8
	v_addc_co_u32_e32 v9, vcc, v10, v9, vcc
	global_load_dwordx2 v[8:9], v[8:9], off
	v_mov_b32_e32 v33, v25
	v_lshlrev_b64 v[10:11], 3, v[32:33]
	v_mov_b32_e32 v12, s7
	v_add_co_u32_e32 v10, vcc, s6, v10
	v_addc_co_u32_e32 v11, vcc, v12, v11, vcc
	global_load_dwordx2 v[10:11], v[10:11], off
	v_mov_b32_e32 v28, v25
	v_lshlrev_b64 v[14:15], 3, v[27:28]
	ds_write_b32 v76, v7 offset:4
	ds_write_b64 v0, v[1:2] offset:30000
	v_mov_b32_e32 v7, s7
	v_add_co_u32_e32 v14, vcc, s6, v14
	v_addc_co_u32_e32 v15, vcc, v7, v15, vcc
	ds_read_b64 v[1:2], v81
	ds_read_b64 v[12:13], v0 offset:29000
	global_load_dwordx2 v[14:15], v[14:15], off
	v_mov_b32_e32 v30, v25
	v_lshlrev_b64 v[16:17], 3, v[29:30]
	v_mov_b32_e32 v21, s7
	s_waitcnt lgkmcnt(0)
	v_add_f32_e32 v7, v1, v12
	v_sub_f32_e32 v1, v1, v12
	v_add_f32_e32 v27, v2, v13
	v_sub_f32_e32 v2, v2, v13
	v_mul_f32_e32 v13, 0.5, v1
	v_mul_f32_e32 v12, 0.5, v27
	;; [unrolled: 1-line block ×3, first 2 shown]
	v_mov_b32_e32 v32, v25
	v_lshlrev_b64 v[18:19], 3, v[31:32]
	v_mov_b32_e32 v24, s7
	v_add_u32_e32 v6, v78, v6
	s_waitcnt vmcnt(3)
	v_mul_f32_e32 v27, v4, v13
	v_fma_f32 v2, v12, v4, v1
	v_fma_f32 v4, v12, v4, -v1
	v_fma_f32 v1, 0.5, v7, v27
	v_fma_f32 v2, -v3, v13, v2
	v_fma_f32 v7, v7, 0.5, -v27
	v_fmac_f32_e32 v1, v3, v12
	v_fma_f32 v4, -v3, v13, v4
	v_fma_f32 v3, -v3, v12, v7
	ds_write_b64 v81, v[1:2]
	ds_write_b64 v0, v[3:4] offset:29000
	ds_read_b64 v[1:2], v80
	ds_read_b64 v[3:4], v0 offset:28000
	v_add_co_u32_e32 v12, vcc, s6, v16
	v_addc_co_u32_e32 v13, vcc, v21, v17, vcc
	global_load_dwordx2 v[12:13], v[12:13], off
	s_waitcnt lgkmcnt(0)
	v_add_f32_e32 v7, v1, v3
	v_sub_f32_e32 v1, v1, v3
	v_add_f32_e32 v16, v2, v4
	v_sub_f32_e32 v2, v2, v4
	v_mul_f32_e32 v4, 0.5, v1
	v_mul_f32_e32 v3, 0.5, v16
	;; [unrolled: 1-line block ×3, first 2 shown]
	s_waitcnt vmcnt(3)
	v_mul_f32_e32 v16, v9, v4
	v_fma_f32 v2, v3, v9, v1
	v_fma_f32 v9, v3, v9, -v1
	v_fma_f32 v1, 0.5, v7, v16
	v_fma_f32 v2, -v8, v4, v2
	v_fma_f32 v7, v7, 0.5, -v16
	v_fmac_f32_e32 v1, v8, v3
	v_fma_f32 v4, -v8, v4, v9
	v_fma_f32 v3, -v8, v3, v7
	ds_write_b64 v80, v[1:2]
	ds_write_b64 v0, v[3:4] offset:28000
	ds_read_b64 v[1:2], v82
	ds_read_b64 v[3:4], v0 offset:27000
	v_add_co_u32_e32 v7, vcc, s6, v18
	v_addc_co_u32_e32 v8, vcc, v24, v19, vcc
	global_load_dwordx2 v[7:8], v[7:8], off
	s_waitcnt lgkmcnt(0)
	v_add_f32_e32 v9, v1, v3
	v_sub_f32_e32 v1, v1, v3
	v_add_f32_e32 v16, v2, v4
	v_sub_f32_e32 v2, v2, v4
	v_mul_f32_e32 v4, 0.5, v1
	v_mul_f32_e32 v3, 0.5, v16
	;; [unrolled: 1-line block ×3, first 2 shown]
	s_waitcnt vmcnt(3)
	v_mul_f32_e32 v16, v11, v4
	v_fma_f32 v2, v3, v11, v1
	v_fma_f32 v11, v3, v11, -v1
	v_fma_f32 v1, 0.5, v9, v16
	v_fma_f32 v2, -v10, v4, v2
	v_fma_f32 v9, v9, 0.5, -v16
	v_fmac_f32_e32 v1, v10, v3
	v_fma_f32 v4, -v10, v4, v11
	v_fma_f32 v3, -v10, v3, v9
	ds_write_b64 v82, v[1:2]
	ds_write_b64 v0, v[3:4] offset:27000
	ds_read_b64 v[1:2], v79
	ds_read_b64 v[3:4], v0 offset:26000
	v_add_u32_e32 v24, 0x36b, v20
	v_mov_b32_e32 v27, v25
	s_waitcnt lgkmcnt(0)
	v_add_f32_e32 v9, v1, v3
	v_sub_f32_e32 v1, v1, v3
	v_add_f32_e32 v10, v2, v4
	v_sub_f32_e32 v2, v2, v4
	v_mul_f32_e32 v4, 0.5, v1
	v_mul_f32_e32 v3, 0.5, v10
	;; [unrolled: 1-line block ×3, first 2 shown]
	s_waitcnt vmcnt(2)
	v_mul_f32_e32 v11, v15, v4
	v_fma_f32 v1, 0.5, v9, v11
	v_fma_f32 v2, v3, v15, v10
	v_fmac_f32_e32 v1, v14, v3
	v_fma_f32 v2, -v14, v4, v2
	ds_write_b64 v79, v[1:2]
	v_fma_f32 v1, v9, 0.5, -v11
	v_fma_f32 v2, v3, v15, -v10
	v_fma_f32 v1, -v14, v3, v1
	v_fma_f32 v2, -v14, v4, v2
	ds_write_b64 v0, v[1:2] offset:26000
	v_lshlrev_b64 v[1:2], 3, v[24:25]
	v_mov_b32_e32 v3, s7
	v_add_co_u32_e32 v1, vcc, s6, v1
	v_addc_co_u32_e32 v2, vcc, v3, v2, vcc
	global_load_dwordx2 v[1:2], v[1:2], off
	ds_read_b64 v[3:4], v6
	ds_read_b64 v[9:10], v0 offset:25000
	v_add_u32_e32 v24, 0x3e8, v20
	s_waitcnt lgkmcnt(0)
	v_add_f32_e32 v11, v3, v9
	v_add_f32_e32 v14, v4, v10
	v_sub_f32_e32 v3, v3, v9
	v_sub_f32_e32 v4, v4, v10
	v_mul_f32_e32 v15, 0.5, v3
	v_mul_f32_e32 v16, 0.5, v4
	v_lshlrev_b64 v[3:4], 3, v[24:25]
	v_mul_f32_e32 v14, 0.5, v14
	v_mov_b32_e32 v9, s7
	v_add_co_u32_e32 v3, vcc, s6, v3
	s_waitcnt vmcnt(2)
	v_mul_f32_e32 v17, v13, v15
	v_addc_co_u32_e32 v4, vcc, v9, v4, vcc
	v_fma_f32 v9, 0.5, v11, v17
	v_fma_f32 v10, v14, v13, v16
	v_fmac_f32_e32 v9, v12, v14
	v_fma_f32 v10, -v12, v15, v10
	ds_write_b64 v6, v[9:10]
	v_fma_f32 v6, v11, 0.5, -v17
	global_load_dwordx2 v[3:4], v[3:4], off
	v_fma_f32 v9, -v12, v14, v6
	v_fma_f32 v6, v14, v13, -v16
	v_fma_f32 v10, -v12, v15, v6
	ds_write_b64 v0, v[9:10] offset:25000
	v_add_u32_e32 v11, v77, v5
	ds_read_b64 v[5:6], v11
	ds_read_b64 v[9:10], v0 offset:24000
	v_add_u32_e32 v24, 0x4e2, v20
	s_waitcnt lgkmcnt(0)
	v_add_f32_e32 v12, v5, v9
	v_sub_f32_e32 v5, v5, v9
	v_add_f32_e32 v13, v6, v10
	v_sub_f32_e32 v6, v6, v10
	v_mul_f32_e32 v9, 0.5, v5
	v_mul_f32_e32 v13, 0.5, v13
	;; [unrolled: 1-line block ×3, first 2 shown]
	s_waitcnt vmcnt(2)
	v_mul_f32_e32 v14, v8, v9
	v_fma_f32 v5, 0.5, v12, v14
	v_fma_f32 v6, v13, v8, v10
	v_fmac_f32_e32 v5, v7, v13
	v_fma_f32 v6, -v7, v9, v6
	ds_write_b64 v11, v[5:6]
	v_fma_f32 v6, v13, v8, -v10
	v_fma_f32 v6, -v7, v9, v6
	v_lshlrev_b64 v[9:10], 3, v[26:27]
	v_fma_f32 v5, v12, 0.5, -v14
	v_fma_f32 v5, -v7, v13, v5
	v_mov_b32_e32 v11, s7
	v_add_co_u32_e32 v9, vcc, s6, v9
	ds_write_b64 v0, v[5:6] offset:24000
	v_addc_co_u32_e32 v10, vcc, v11, v10, vcc
	ds_read_b64 v[5:6], v76 offset:7000
	ds_read_b64 v[7:8], v0 offset:23000
	global_load_dwordx2 v[9:10], v[9:10], off
	s_waitcnt lgkmcnt(0)
	v_add_f32_e32 v11, v5, v7
	v_sub_f32_e32 v5, v5, v7
	v_add_f32_e32 v12, v6, v8
	v_sub_f32_e32 v6, v6, v8
	v_mul_f32_e32 v7, 0.5, v5
	v_mul_f32_e32 v12, 0.5, v12
	;; [unrolled: 1-line block ×3, first 2 shown]
	s_waitcnt vmcnt(2)
	v_mul_f32_e32 v13, v2, v7
	v_fma_f32 v5, 0.5, v11, v13
	v_fma_f32 v6, v12, v2, v8
	v_fmac_f32_e32 v5, v1, v12
	v_fma_f32 v6, -v1, v7, v6
	v_fma_f32 v2, v12, v2, -v8
	ds_write_b64 v76, v[5:6] offset:7000
	v_fma_f32 v6, -v1, v7, v2
	v_lshlrev_b64 v[7:8], 3, v[24:25]
	v_fma_f32 v5, v11, 0.5, -v13
	v_fma_f32 v5, -v1, v12, v5
	v_mov_b32_e32 v11, s7
	v_add_co_u32_e32 v7, vcc, s6, v7
	ds_write_b64 v0, v[5:6] offset:23000
	v_addc_co_u32_e32 v8, vcc, v11, v8, vcc
	ds_read_b64 v[1:2], v76 offset:8000
	ds_read_b64 v[5:6], v0 offset:22000
	global_load_dwordx2 v[7:8], v[7:8], off
	v_add_u32_e32 v24, 0x55f, v20
	s_waitcnt lgkmcnt(0)
	v_add_f32_e32 v11, v1, v5
	v_sub_f32_e32 v1, v1, v5
	v_add_f32_e32 v12, v2, v6
	v_sub_f32_e32 v2, v2, v6
	v_mul_f32_e32 v5, 0.5, v1
	v_mul_f32_e32 v12, 0.5, v12
	;; [unrolled: 1-line block ×3, first 2 shown]
	s_waitcnt vmcnt(2)
	v_mul_f32_e32 v13, v4, v5
	v_fma_f32 v1, 0.5, v11, v13
	v_fma_f32 v2, v12, v4, v6
	v_fmac_f32_e32 v1, v3, v12
	v_fma_f32 v2, -v3, v5, v2
	ds_write_b64 v76, v[1:2] offset:8000
	v_fma_f32 v2, v12, v4, -v6
	v_fma_f32 v2, -v3, v5, v2
	v_lshlrev_b64 v[5:6], 3, v[24:25]
	v_fma_f32 v1, v11, 0.5, -v13
	v_fma_f32 v1, -v3, v12, v1
	v_mov_b32_e32 v11, s7
	v_add_co_u32_e32 v5, vcc, s6, v5
	ds_write_b64 v0, v[1:2] offset:22000
	v_addc_co_u32_e32 v6, vcc, v11, v6, vcc
	ds_read_b64 v[1:2], v103
	ds_read_b64 v[3:4], v0 offset:21000
	global_load_dwordx2 v[5:6], v[5:6], off
	v_add_u32_e32 v24, 0x5dc, v20
	s_waitcnt lgkmcnt(0)
	v_add_f32_e32 v11, v1, v3
	v_add_f32_e32 v12, v2, v4
	v_sub_f32_e32 v1, v1, v3
	v_sub_f32_e32 v2, v2, v4
	v_mul_f32_e32 v13, 0.5, v1
	v_mul_f32_e32 v14, 0.5, v2
	v_lshlrev_b64 v[1:2], 3, v[24:25]
	v_mul_f32_e32 v12, 0.5, v12
	v_mov_b32_e32 v3, s7
	v_add_co_u32_e32 v1, vcc, s6, v1
	s_waitcnt vmcnt(2)
	v_mul_f32_e32 v15, v10, v13
	v_addc_co_u32_e32 v2, vcc, v3, v2, vcc
	global_load_dwordx2 v[1:2], v[1:2], off
	v_fma_f32 v3, 0.5, v11, v15
	v_fma_f32 v4, v12, v10, v14
	v_fmac_f32_e32 v3, v9, v12
	v_fma_f32 v4, -v9, v13, v4
	ds_write_b64 v103, v[3:4]
	v_fma_f32 v3, v11, 0.5, -v15
	v_fma_f32 v4, v12, v10, -v14
	v_fma_f32 v3, -v9, v12, v3
	v_fma_f32 v4, -v9, v13, v4
	ds_write_b64 v0, v[3:4] offset:21000
	ds_read_b64 v[3:4], v76 offset:10000
	ds_read_b64 v[9:10], v0 offset:20000
	v_add_u32_e32 v24, 0x659, v20
	s_waitcnt lgkmcnt(0)
	v_add_f32_e32 v11, v4, v10
	v_mul_f32_e32 v14, 0.5, v11
	v_lshlrev_b64 v[11:12], 3, v[24:25]
	v_add_f32_e32 v13, v3, v9
	v_sub_f32_e32 v3, v3, v9
	v_mov_b32_e32 v9, s7
	v_add_co_u32_e32 v11, vcc, s6, v11
	v_addc_co_u32_e32 v12, vcc, v9, v12, vcc
	global_load_dwordx2 v[11:12], v[11:12], off
	v_sub_f32_e32 v4, v4, v10
	v_mul_f32_e32 v9, 0.5, v3
	v_mul_f32_e32 v10, 0.5, v4
	v_add_u32_e32 v24, 0x6d6, v20
	s_waitcnt vmcnt(3)
	v_mul_f32_e32 v15, v8, v9
	v_fma_f32 v3, 0.5, v13, v15
	v_fma_f32 v4, v14, v8, v10
	v_fmac_f32_e32 v3, v7, v14
	v_fma_f32 v4, -v7, v9, v4
	ds_write_b64 v76, v[3:4] offset:10000
	v_fma_f32 v4, v14, v8, -v10
	v_fma_f32 v4, -v7, v9, v4
	v_lshlrev_b64 v[9:10], 3, v[24:25]
	v_fma_f32 v3, v13, 0.5, -v15
	v_fma_f32 v3, -v7, v14, v3
	v_mov_b32_e32 v13, s7
	v_add_co_u32_e32 v9, vcc, s6, v9
	ds_write_b64 v0, v[3:4] offset:20000
	v_addc_co_u32_e32 v10, vcc, v13, v10, vcc
	ds_read_b64 v[3:4], v76 offset:11000
	ds_read_b64 v[7:8], v0 offset:19000
	global_load_dwordx2 v[9:10], v[9:10], off
	s_waitcnt lgkmcnt(0)
	v_add_f32_e32 v13, v3, v7
	v_sub_f32_e32 v3, v3, v7
	v_add_f32_e32 v14, v4, v8
	v_sub_f32_e32 v4, v4, v8
	v_mul_f32_e32 v7, 0.5, v3
	v_mul_f32_e32 v14, 0.5, v14
	v_mul_f32_e32 v8, 0.5, v4
	s_waitcnt vmcnt(3)
	v_mul_f32_e32 v15, v6, v7
	v_fma_f32 v3, 0.5, v13, v15
	v_fma_f32 v4, v14, v6, v8
	v_fmac_f32_e32 v3, v5, v14
	v_fma_f32 v4, -v5, v7, v4
	ds_write_b64 v76, v[3:4] offset:11000
	v_fma_f32 v3, v13, 0.5, -v15
	v_fma_f32 v4, v14, v6, -v8
	v_fma_f32 v3, -v5, v14, v3
	v_fma_f32 v4, -v5, v7, v4
	ds_write_b64 v0, v[3:4] offset:19000
	ds_read_b64 v[3:4], v76 offset:12000
	ds_read_b64 v[5:6], v0 offset:18000
	s_waitcnt lgkmcnt(0)
	v_add_f32_e32 v7, v3, v5
	v_sub_f32_e32 v3, v3, v5
	v_add_f32_e32 v8, v4, v6
	v_sub_f32_e32 v4, v4, v6
	v_mul_f32_e32 v5, 0.5, v3
	v_mul_f32_e32 v8, 0.5, v8
	v_mul_f32_e32 v6, 0.5, v4
	s_waitcnt vmcnt(2)
	v_mul_f32_e32 v13, v2, v5
	v_fma_f32 v3, 0.5, v7, v13
	v_fma_f32 v4, v8, v2, v6
	v_fmac_f32_e32 v3, v1, v8
	v_fma_f32 v4, -v1, v5, v4
	ds_write_b64 v76, v[3:4] offset:12000
	v_fma_f32 v3, v7, 0.5, -v13
	v_fma_f32 v2, v8, v2, -v6
	v_fma_f32 v3, -v1, v8, v3
	v_fma_f32 v4, -v1, v5, v2
	ds_write_b64 v0, v[3:4] offset:18000
	ds_read_b64 v[1:2], v76 offset:13000
	ds_read_b64 v[3:4], v0 offset:17000
	;; [unrolled: 22-line block ×3, first 2 shown]
	s_waitcnt lgkmcnt(0)
	v_add_f32_e32 v5, v1, v3
	v_sub_f32_e32 v1, v1, v3
	v_add_f32_e32 v6, v2, v4
	v_sub_f32_e32 v2, v2, v4
	v_mul_f32_e32 v3, 0.5, v1
	v_mul_f32_e32 v6, 0.5, v6
	;; [unrolled: 1-line block ×3, first 2 shown]
	s_waitcnt vmcnt(0)
	v_mul_f32_e32 v7, v10, v3
	v_fma_f32 v1, 0.5, v5, v7
	v_fma_f32 v2, v6, v10, v4
	v_fmac_f32_e32 v1, v9, v6
	v_fma_f32 v2, -v9, v3, v2
	ds_write_b64 v76, v[1:2] offset:14000
	v_fma_f32 v1, v5, 0.5, -v7
	v_fma_f32 v2, v6, v10, -v4
	v_fma_f32 v1, -v9, v6, v1
	v_fma_f32 v2, -v9, v3, v2
	ds_write_b64 v0, v[1:2] offset:16000
	s_waitcnt lgkmcnt(0)
	s_barrier
	s_and_saveexec_b64 s[4:5], s[0:1]
	s_cbranch_execz .LBB0_20
; %bb.18:
	v_mov_b32_e32 v21, v25
	v_mov_b32_e32 v0, s3
	v_add_co_u32_e32 v1, vcc, s2, v22
	v_lshlrev_b64 v[6:7], 3, v[20:21]
	ds_read2_b64 v[2:5], v76 offset1:125
	v_addc_co_u32_e32 v0, vcc, v0, v23, vcc
	v_add_co_u32_e32 v14, vcc, v1, v6
	v_add_u32_e32 v6, 0x400, v76
	v_addc_co_u32_e32 v15, vcc, v0, v7, vcc
	ds_read2_b64 v[6:9], v6 offset0:122 offset1:247
	v_add_u32_e32 v10, 0xc00, v76
	ds_read2_b64 v[10:13], v10 offset0:116 offset1:241
	s_waitcnt lgkmcnt(2)
	global_store_dwordx2 v[14:15], v[2:3], off
	global_store_dwordx2 v[14:15], v[4:5], off offset:1000
	s_waitcnt lgkmcnt(1)
	global_store_dwordx2 v[14:15], v[6:7], off offset:2000
	global_store_dwordx2 v[14:15], v[8:9], off offset:3000
	s_waitcnt lgkmcnt(0)
	global_store_dwordx2 v[14:15], v[10:11], off offset:4000
	v_add_u32_e32 v2, 0x1400, v76
	ds_read2_b64 v[2:5], v2 offset0:110 offset1:235
	s_movk_i32 s0, 0x1000
	v_add_u32_e32 v6, 0x1c00, v76
	ds_read2_b64 v[6:9], v6 offset0:104 offset1:229
	v_add_co_u32_e32 v10, vcc, s0, v14
	v_addc_co_u32_e32 v11, vcc, 0, v15, vcc
	global_store_dwordx2 v[10:11], v[12:13], off offset:904
	s_waitcnt lgkmcnt(1)
	global_store_dwordx2 v[10:11], v[2:3], off offset:1904
	global_store_dwordx2 v[10:11], v[4:5], off offset:2904
	s_waitcnt lgkmcnt(0)
	global_store_dwordx2 v[10:11], v[6:7], off offset:3904
	v_add_u32_e32 v2, 0x2400, v76
	ds_read2_b64 v[2:5], v2 offset0:98 offset1:223
	s_movk_i32 s0, 0x2000
	v_add_u32_e32 v6, 0x2c00, v76
	ds_read2_b64 v[10:13], v6 offset0:92 offset1:217
	v_add_co_u32_e32 v6, vcc, s0, v14
	v_addc_co_u32_e32 v7, vcc, 0, v15, vcc
	;; [unrolled: 13-line block ×6, first 2 shown]
	global_store_dwordx2 v[6:7], v[8:9], off offset:424
	s_waitcnt lgkmcnt(1)
	global_store_dwordx2 v[6:7], v[2:3], off offset:1424
	global_store_dwordx2 v[6:7], v[4:5], off offset:2424
	s_waitcnt lgkmcnt(0)
	global_store_dwordx2 v[6:7], v[10:11], off offset:3424
	v_add_co_u32_e32 v2, vcc, 0x7000, v14
	v_addc_co_u32_e32 v3, vcc, 0, v15, vcc
	s_movk_i32 s0, 0x7c
	v_cmp_eq_u32_e32 vcc, s0, v20
	global_store_dwordx2 v[2:3], v[12:13], off offset:328
	s_and_b64 exec, exec, vcc
	s_cbranch_execz .LBB0_20
; %bb.19:
	v_mov_b32_e32 v2, 0
	ds_read_b64 v[2:3], v2 offset:30000
	v_add_co_u32_e32 v4, vcc, 0x7000, v1
	v_addc_co_u32_e32 v5, vcc, 0, v0, vcc
	s_waitcnt lgkmcnt(0)
	global_store_dwordx2 v[4:5], v[2:3], off offset:1328
.LBB0_20:
	s_endpgm
	.section	.rodata,"a",@progbits
	.p2align	6, 0x0
	.amdhsa_kernel fft_rtc_back_len3750_factors_3_5_5_10_5_wgs_125_tpt_125_halfLds_sp_ip_CI_unitstride_sbrr_R2C_dirReg
		.amdhsa_group_segment_fixed_size 0
		.amdhsa_private_segment_fixed_size 0
		.amdhsa_kernarg_size 88
		.amdhsa_user_sgpr_count 6
		.amdhsa_user_sgpr_private_segment_buffer 1
		.amdhsa_user_sgpr_dispatch_ptr 0
		.amdhsa_user_sgpr_queue_ptr 0
		.amdhsa_user_sgpr_kernarg_segment_ptr 1
		.amdhsa_user_sgpr_dispatch_id 0
		.amdhsa_user_sgpr_flat_scratch_init 0
		.amdhsa_user_sgpr_private_segment_size 0
		.amdhsa_uses_dynamic_stack 0
		.amdhsa_system_sgpr_private_segment_wavefront_offset 0
		.amdhsa_system_sgpr_workgroup_id_x 1
		.amdhsa_system_sgpr_workgroup_id_y 0
		.amdhsa_system_sgpr_workgroup_id_z 0
		.amdhsa_system_sgpr_workgroup_info 0
		.amdhsa_system_vgpr_workitem_id 0
		.amdhsa_next_free_vgpr 142
		.amdhsa_next_free_sgpr 22
		.amdhsa_reserve_vcc 1
		.amdhsa_reserve_flat_scratch 0
		.amdhsa_float_round_mode_32 0
		.amdhsa_float_round_mode_16_64 0
		.amdhsa_float_denorm_mode_32 3
		.amdhsa_float_denorm_mode_16_64 3
		.amdhsa_dx10_clamp 1
		.amdhsa_ieee_mode 1
		.amdhsa_fp16_overflow 0
		.amdhsa_exception_fp_ieee_invalid_op 0
		.amdhsa_exception_fp_denorm_src 0
		.amdhsa_exception_fp_ieee_div_zero 0
		.amdhsa_exception_fp_ieee_overflow 0
		.amdhsa_exception_fp_ieee_underflow 0
		.amdhsa_exception_fp_ieee_inexact 0
		.amdhsa_exception_int_div_zero 0
	.end_amdhsa_kernel
	.text
.Lfunc_end0:
	.size	fft_rtc_back_len3750_factors_3_5_5_10_5_wgs_125_tpt_125_halfLds_sp_ip_CI_unitstride_sbrr_R2C_dirReg, .Lfunc_end0-fft_rtc_back_len3750_factors_3_5_5_10_5_wgs_125_tpt_125_halfLds_sp_ip_CI_unitstride_sbrr_R2C_dirReg
                                        ; -- End function
	.section	.AMDGPU.csdata,"",@progbits
; Kernel info:
; codeLenInByte = 20808
; NumSgprs: 26
; NumVgprs: 142
; ScratchSize: 0
; MemoryBound: 0
; FloatMode: 240
; IeeeMode: 1
; LDSByteSize: 0 bytes/workgroup (compile time only)
; SGPRBlocks: 3
; VGPRBlocks: 35
; NumSGPRsForWavesPerEU: 26
; NumVGPRsForWavesPerEU: 142
; Occupancy: 1
; WaveLimiterHint : 1
; COMPUTE_PGM_RSRC2:SCRATCH_EN: 0
; COMPUTE_PGM_RSRC2:USER_SGPR: 6
; COMPUTE_PGM_RSRC2:TRAP_HANDLER: 0
; COMPUTE_PGM_RSRC2:TGID_X_EN: 1
; COMPUTE_PGM_RSRC2:TGID_Y_EN: 0
; COMPUTE_PGM_RSRC2:TGID_Z_EN: 0
; COMPUTE_PGM_RSRC2:TIDIG_COMP_CNT: 0
	.type	__hip_cuid_b219644ef8328c46,@object ; @__hip_cuid_b219644ef8328c46
	.section	.bss,"aw",@nobits
	.globl	__hip_cuid_b219644ef8328c46
__hip_cuid_b219644ef8328c46:
	.byte	0                               ; 0x0
	.size	__hip_cuid_b219644ef8328c46, 1

	.ident	"AMD clang version 19.0.0git (https://github.com/RadeonOpenCompute/llvm-project roc-6.4.0 25133 c7fe45cf4b819c5991fe208aaa96edf142730f1d)"
	.section	".note.GNU-stack","",@progbits
	.addrsig
	.addrsig_sym __hip_cuid_b219644ef8328c46
	.amdgpu_metadata
---
amdhsa.kernels:
  - .args:
      - .actual_access:  read_only
        .address_space:  global
        .offset:         0
        .size:           8
        .value_kind:     global_buffer
      - .offset:         8
        .size:           8
        .value_kind:     by_value
      - .actual_access:  read_only
        .address_space:  global
        .offset:         16
        .size:           8
        .value_kind:     global_buffer
      - .actual_access:  read_only
        .address_space:  global
        .offset:         24
        .size:           8
        .value_kind:     global_buffer
      - .offset:         32
        .size:           8
        .value_kind:     by_value
      - .actual_access:  read_only
        .address_space:  global
        .offset:         40
        .size:           8
        .value_kind:     global_buffer
      - .actual_access:  read_only
        .address_space:  global
        .offset:         48
        .size:           8
        .value_kind:     global_buffer
      - .offset:         56
        .size:           4
        .value_kind:     by_value
      - .actual_access:  read_only
        .address_space:  global
        .offset:         64
        .size:           8
        .value_kind:     global_buffer
      - .actual_access:  read_only
        .address_space:  global
        .offset:         72
        .size:           8
        .value_kind:     global_buffer
      - .address_space:  global
        .offset:         80
        .size:           8
        .value_kind:     global_buffer
    .group_segment_fixed_size: 0
    .kernarg_segment_align: 8
    .kernarg_segment_size: 88
    .language:       OpenCL C
    .language_version:
      - 2
      - 0
    .max_flat_workgroup_size: 125
    .name:           fft_rtc_back_len3750_factors_3_5_5_10_5_wgs_125_tpt_125_halfLds_sp_ip_CI_unitstride_sbrr_R2C_dirReg
    .private_segment_fixed_size: 0
    .sgpr_count:     26
    .sgpr_spill_count: 0
    .symbol:         fft_rtc_back_len3750_factors_3_5_5_10_5_wgs_125_tpt_125_halfLds_sp_ip_CI_unitstride_sbrr_R2C_dirReg.kd
    .uniform_work_group_size: 1
    .uses_dynamic_stack: false
    .vgpr_count:     142
    .vgpr_spill_count: 0
    .wavefront_size: 64
amdhsa.target:   amdgcn-amd-amdhsa--gfx906
amdhsa.version:
  - 1
  - 2
...

	.end_amdgpu_metadata
